;; amdgpu-corpus repo=ROCm/rocFFT kind=compiled arch=gfx1100 opt=O3
	.text
	.amdgcn_target "amdgcn-amd-amdhsa--gfx1100"
	.amdhsa_code_object_version 6
	.protected	bluestein_single_back_len1683_dim1_sp_op_CI_CI ; -- Begin function bluestein_single_back_len1683_dim1_sp_op_CI_CI
	.globl	bluestein_single_back_len1683_dim1_sp_op_CI_CI
	.p2align	8
	.type	bluestein_single_back_len1683_dim1_sp_op_CI_CI,@function
bluestein_single_back_len1683_dim1_sp_op_CI_CI: ; @bluestein_single_back_len1683_dim1_sp_op_CI_CI
; %bb.0:
	s_load_b128 s[16:19], s[0:1], 0x28
	v_mul_u32_u24_e32 v1, 0x506, v0
	s_mov_b32 s2, exec_lo
	v_mov_b32_e32 v7, 0
	s_delay_alu instid0(VALU_DEP_2) | instskip(NEXT) | instid1(VALU_DEP_1)
	v_lshrrev_b32_e32 v1, 16, v1
	v_add_nc_u32_e32 v6, s15, v1
	s_waitcnt lgkmcnt(0)
	s_delay_alu instid0(VALU_DEP_1)
	v_cmpx_gt_u64_e64 s[16:17], v[6:7]
	s_cbranch_execz .LBB0_15
; %bb.1:
	s_clause 0x1
	s_load_b128 s[4:7], s[0:1], 0x18
	s_load_b64 s[12:13], s[0:1], 0x0
	v_mul_lo_u16 v1, v1, 51
	s_delay_alu instid0(VALU_DEP_1) | instskip(NEXT) | instid1(VALU_DEP_1)
	v_sub_nc_u16 v49, v0, v1
	v_and_b32_e32 v50, 0xffff, v49
	s_delay_alu instid0(VALU_DEP_1)
	v_lshlrev_b32_e32 v244, 3, v50
	v_mov_b32_e32 v4, v6
	s_waitcnt lgkmcnt(0)
	s_load_b128 s[8:11], s[4:5], 0x0
	s_clause 0x5
	global_load_b64 v[79:80], v244, s[12:13]
	global_load_b64 v[81:82], v244, s[12:13] offset:792
	global_load_b64 v[73:74], v244, s[12:13] offset:1584
	;; [unrolled: 1-line block ×5, first 2 shown]
	scratch_store_b64 off, v[4:5], off offset:4 ; 8-byte Folded Spill
	s_waitcnt lgkmcnt(0)
	v_mad_u64_u32 v[0:1], null, s10, v6, 0
	v_mad_u64_u32 v[2:3], null, s8, v50, 0
	s_mul_i32 s3, s9, 0x63
	s_mul_hi_u32 s4, s8, 0x63
	s_delay_alu instid0(SALU_CYCLE_1) | instskip(NEXT) | instid1(VALU_DEP_1)
	s_add_i32 s3, s4, s3
	v_mad_u64_u32 v[4:5], null, s11, v6, v[1:2]
	s_delay_alu instid0(VALU_DEP_1) | instskip(NEXT) | instid1(VALU_DEP_3)
	v_mov_b32_e32 v1, v4
	v_mad_u64_u32 v[5:6], null, s9, v50, v[3:4]
	v_or_b32_e32 v246, 0x600, v50
	s_delay_alu instid0(VALU_DEP_3) | instskip(NEXT) | instid1(VALU_DEP_3)
	v_lshlrev_b64 v[0:1], 3, v[0:1]
	v_mov_b32_e32 v3, v5
	v_add_co_u32 v240, s2, s12, v244
	s_delay_alu instid0(VALU_DEP_1) | instskip(NEXT) | instid1(VALU_DEP_3)
	v_add_co_ci_u32_e64 v241, null, s13, 0, s2
	v_lshlrev_b64 v[2:3], 3, v[2:3]
	s_delay_alu instid0(VALU_DEP_3) | instskip(NEXT) | instid1(VALU_DEP_3)
	v_add_co_u32 v205, vcc_lo, 0x1000, v240
	v_add_co_ci_u32_e32 v206, vcc_lo, 0, v241, vcc_lo
	v_add_co_u32 v199, vcc_lo, 0x2000, v240
	v_add_co_ci_u32_e32 v200, vcc_lo, 0, v241, vcc_lo
	;; [unrolled: 2-line block ×4, first 2 shown]
	s_mul_i32 s2, s8, 0x63
	s_delay_alu instid0(VALU_DEP_2) | instskip(NEXT) | instid1(VALU_DEP_2)
	v_add_co_u32 v0, vcc_lo, v9, v2
	v_add_co_ci_u32_e32 v1, vcc_lo, v10, v3, vcc_lo
	s_lshl_b64 s[14:15], s[2:3], 3
	s_clause 0x3
	global_load_b64 v[83:84], v[205:206], off offset:656
	global_load_b64 v[77:78], v[205:206], off offset:1448
	;; [unrolled: 1-line block ×4, first 2 shown]
	v_add_co_u32 v2, vcc_lo, v0, s14
	v_add_co_ci_u32_e32 v3, vcc_lo, s15, v1, vcc_lo
	s_clause 0x3
	global_load_b64 v[65:66], v[205:206], off offset:3824
	global_load_b64 v[63:64], v[199:200], off offset:520
	;; [unrolled: 1-line block ×4, first 2 shown]
	v_add_co_u32 v4, vcc_lo, v2, s14
	v_add_co_ci_u32_e32 v5, vcc_lo, s15, v3, vcc_lo
	global_load_b64 v[11:12], v[0:1], off
	v_add_co_u32 v6, vcc_lo, v4, s14
	v_add_co_ci_u32_e32 v7, vcc_lo, s15, v5, vcc_lo
	global_load_b64 v[51:52], v[199:200], off offset:2896
	v_add_co_u32 v0, vcc_lo, v6, s14
	v_add_co_ci_u32_e32 v1, vcc_lo, s15, v7, vcc_lo
	s_clause 0x2
	global_load_b64 v[13:14], v[2:3], off
	global_load_b64 v[15:16], v[4:5], off
	;; [unrolled: 1-line block ×3, first 2 shown]
	v_add_nc_u32_e32 v5, 0x1000, v244
	v_add_co_u32 v2, vcc_lo, v0, s14
	v_add_co_ci_u32_e32 v3, vcc_lo, s15, v1, vcc_lo
	global_load_b64 v[19:20], v[0:1], off
	v_add_co_u32 v0, vcc_lo, v2, s14
	v_add_co_ci_u32_e32 v1, vcc_lo, s15, v3, vcc_lo
	global_load_b64 v[21:22], v[2:3], off
	;; [unrolled: 3-line block ×12, first 2 shown]
	s_clause 0x1
	global_load_b64 v[59:60], v[199:200], off offset:3688
	global_load_b64 v[57:58], v[203:204], off offset:384
	global_load_b64 v[43:44], v[0:1], off
	v_add_nc_u32_e32 v8, 0x400, v244
	v_add_nc_u32_e32 v3, 0x1800, v244
	v_add_nc_u32_e32 v4, 0x2400, v244
	s_load_b64 s[10:11], s[0:1], 0x38
	s_load_b128 s[4:7], s[6:7], 0x0
	v_cmp_gt_u16_e32 vcc_lo, 48, v49
	scratch_store_b32 off, v50, off         ; 4-byte Folded Spill
	s_waitcnt vmcnt(32)
	scratch_store_b64 off, v[81:82], off offset:132 ; 8-byte Folded Spill
	s_waitcnt vmcnt(31)
	scratch_store_b64 off, v[73:74], off offset:100 ; 8-byte Folded Spill
	s_waitcnt vmcnt(30)
	s_clause 0x1
	scratch_store_b64 off, v[75:76], off offset:108
	scratch_store_b64 off, v[79:80], off offset:124
	s_waitcnt vmcnt(29)
	scratch_store_b64 off, v[69:70], off offset:84 ; 8-byte Folded Spill
	s_waitcnt vmcnt(28)
	scratch_store_b64 off, v[71:72], off offset:92 ; 8-byte Folded Spill
	;; [unrolled: 2-line block ×10, first 2 shown]
	s_waitcnt vmcnt(19)
	v_mul_f32_e32 v45, v12, v80
	v_mul_f32_e32 v7, v11, v80
	s_waitcnt vmcnt(18)
	scratch_store_b64 off, v[51:52], off offset:12 ; 8-byte Folded Spill
	v_fma_f32 v46, v12, v79, -v7
	v_add_nc_u32_e32 v7, 0x2800, v244
	s_waitcnt vmcnt(17)
	v_mul_f32_e32 v47, v14, v82
	v_mul_f32_e32 v48, v13, v82
	s_waitcnt vmcnt(16)
	v_mul_f32_e32 v12, v15, v74
	v_dual_fmac_f32 v45, v11, v79 :: v_dual_add_nc_u32 v6, 0x800, v244
	v_dual_mul_f32 v11, v16, v74 :: v_dual_add_nc_u32 v2, 0x1c00, v244
	v_fmac_f32_e32 v47, v13, v81
	v_fma_f32 v48, v14, v81, -v48
	s_waitcnt vmcnt(15)
	v_mul_f32_e32 v13, v18, v76
	v_dual_fmac_f32 v11, v15, v73 :: v_dual_mul_f32 v14, v17, v76
	v_fma_f32 v12, v16, v73, -v12
	s_waitcnt vmcnt(14)
	v_mul_f32_e32 v15, v20, v70
	v_dual_fmac_f32 v13, v17, v75 :: v_dual_mul_f32 v16, v19, v70
	v_fma_f32 v14, v18, v75, -v14
	ds_store_2addr_b64 v244, v[45:46], v[47:48] offset1:99
	s_waitcnt vmcnt(13)
	v_mul_f32_e32 v17, v22, v72
	v_mul_f32_e32 v45, v21, v72
	v_fma_f32 v16, v20, v69, -v16
	s_waitcnt vmcnt(12)
	v_mul_f32_e32 v20, v23, v84
	ds_store_2addr_b64 v8, v[11:12], v[13:14] offset0:70 offset1:169
	s_waitcnt vmcnt(11)
	v_mul_f32_e32 v11, v26, v78
	v_mul_f32_e32 v12, v25, v78
	v_fma_f32 v20, v24, v83, -v20
	s_waitcnt vmcnt(10)
	v_mul_f32_e32 v14, v27, v68
	v_fmac_f32_e32 v15, v19, v69
	v_mul_f32_e32 v19, v24, v84
	v_fmac_f32_e32 v11, v25, v77
	v_fma_f32 v12, v26, v77, -v12
	v_mul_f32_e32 v13, v28, v68
	v_fma_f32 v14, v28, v67, -v14
	v_fmac_f32_e32 v19, v23, v83
	s_delay_alu instid0(VALU_DEP_3)
	v_fmac_f32_e32 v13, v27, v67
	s_waitcnt vmcnt(2)
	scratch_store_b64 off, v[59:60], off offset:44 ; 8-byte Folded Spill
	s_waitcnt vmcnt(1)
	scratch_store_b64 off, v[57:58], off offset:36 ; 8-byte Folded Spill
	s_waitcnt vmcnt(0)
	v_mul_f32_e32 v24, v43, v58
	v_fma_f32 v18, v22, v71, -v45
	v_mul_f32_e32 v22, v41, v60
	ds_store_2addr_b64 v5, v[19:20], v[11:12] offset0:82 offset1:181
	v_dual_mul_f32 v12, v31, v66 :: v_dual_fmac_f32 v17, v21, v71
	v_mul_f32_e32 v11, v32, v66
	v_mul_f32_e32 v19, v40, v52
	;; [unrolled: 1-line block ×4, first 2 shown]
	ds_store_2addr_b64 v6, v[15:16], v[17:18] offset0:140 offset1:239
	v_mul_f32_e32 v15, v30, v62
	v_dual_mul_f32 v16, v29, v62 :: v_dual_mul_f32 v17, v34, v64
	v_mul_f32_e32 v23, v44, v58
	v_fmac_f32_e32 v11, v31, v65
	s_delay_alu instid0(VALU_DEP_4) | instskip(NEXT) | instid1(VALU_DEP_4)
	v_fmac_f32_e32 v15, v29, v61
	v_fma_f32 v16, v30, v61, -v16
	v_fma_f32 v12, v32, v65, -v12
	v_fmac_f32_e32 v17, v33, v63
	v_fmac_f32_e32 v19, v39, v51
	v_fma_f32 v20, v40, v51, -v20
	ds_store_2addr_b64 v3, v[13:14], v[15:16] offset0:24 offset1:123
	v_mul_f32_e32 v14, v33, v64
	v_mul_f32_e32 v13, v36, v56
	;; [unrolled: 1-line block ×4, first 2 shown]
	v_fmac_f32_e32 v21, v41, v59
	v_fma_f32 v18, v34, v63, -v14
	v_mul_f32_e32 v14, v35, v56
	v_fmac_f32_e32 v13, v35, v55
	v_fmac_f32_e32 v15, v37, v53
	v_fma_f32 v16, v38, v53, -v16
	v_fma_f32 v22, v42, v59, -v22
	;; [unrolled: 1-line block ×3, first 2 shown]
	v_fmac_f32_e32 v23, v43, v57
	v_fma_f32 v24, v44, v57, -v24
	ds_store_2addr_b64 v2, v[11:12], v[17:18] offset0:94 offset1:193
	ds_store_2addr_b64 v4, v[13:14], v[15:16] offset0:36 offset1:135
	;; [unrolled: 1-line block ×3, first 2 shown]
	ds_store_b64 v244, v[23:24] offset:12672
	s_and_saveexec_b32 s3, vcc_lo
	s_cbranch_execz .LBB0_3
; %bb.2:
	v_mad_u64_u32 v[11:12], null, 0xffffd018, s8, v[0:1]
	s_mul_i32 s2, s9, 0xffffd018
	v_mad_u64_u32 v[27:28], null, s8, v246, 0
	s_sub_i32 s2, s2, s8
	s_clause 0x4
	global_load_b64 v[13:14], v[240:241], off offset:408
	global_load_b64 v[15:16], v[240:241], off offset:1200
	global_load_b64 v[17:18], v[240:241], off offset:1992
	global_load_b64 v[19:20], v[240:241], off offset:2784
	global_load_b64 v[23:24], v[240:241], off offset:3576
	v_add_nc_u32_e32 v12, s2, v12
	v_add_co_u32 v0, s2, v11, s14
	s_delay_alu instid0(VALU_DEP_1) | instskip(NEXT) | instid1(VALU_DEP_2)
	v_add_co_ci_u32_e64 v1, s2, s15, v12, s2
	v_add_co_u32 v21, s2, v0, s14
	s_delay_alu instid0(VALU_DEP_1) | instskip(NEXT) | instid1(VALU_DEP_2)
	v_add_co_ci_u32_e64 v22, s2, s15, v1, s2
	;; [unrolled: 3-line block ×3, first 2 shown]
	v_add_co_u32 v29, s2, v25, s14
	s_delay_alu instid0(VALU_DEP_1)
	v_add_co_ci_u32_e64 v30, s2, s15, v26, s2
	global_load_b64 v[11:12], v[11:12], off
	global_load_b64 v[0:1], v[0:1], off
	;; [unrolled: 1-line block ×5, first 2 shown]
	v_add_co_u32 v29, s2, v29, s14
	s_delay_alu instid0(VALU_DEP_1) | instskip(NEXT) | instid1(VALU_DEP_2)
	v_add_co_ci_u32_e64 v30, s2, s15, v30, s2
	v_add_co_u32 v33, s2, v29, s14
	s_delay_alu instid0(VALU_DEP_1)
	v_add_co_ci_u32_e64 v34, s2, s15, v30, s2
	v_mad_u64_u32 v[35:36], null, s9, v246, v[28:29]
	global_load_b64 v[29:30], v[29:30], off
	s_clause 0x1
	global_load_b64 v[38:39], v[205:206], off offset:1064
	global_load_b64 v[40:41], v[205:206], off offset:1856
	v_add_co_u32 v36, s2, v33, s14
	s_delay_alu instid0(VALU_DEP_1) | instskip(SKIP_1) | instid1(VALU_DEP_3)
	v_add_co_ci_u32_e64 v37, s2, s15, v34, s2
	v_dual_mov_b32 v28, v35 :: v_dual_lshlrev_b32 v35, 3, v246
	v_add_co_u32 v42, s2, v36, s14
	s_delay_alu instid0(VALU_DEP_1) | instskip(NEXT) | instid1(VALU_DEP_3)
	v_add_co_ci_u32_e64 v43, s2, s15, v37, s2
	v_lshlrev_b64 v[27:28], 3, v[27:28]
	s_delay_alu instid0(VALU_DEP_3) | instskip(NEXT) | instid1(VALU_DEP_1)
	v_add_co_u32 v44, s2, v42, s14
	v_add_co_ci_u32_e64 v45, s2, s15, v43, s2
	s_delay_alu instid0(VALU_DEP_3) | instskip(NEXT) | instid1(VALU_DEP_1)
	v_add_co_u32 v9, s2, v9, v27
	v_add_co_ci_u32_e64 v10, s2, v10, v28, s2
	s_delay_alu instid0(VALU_DEP_4) | instskip(NEXT) | instid1(VALU_DEP_1)
	v_add_co_u32 v27, s2, v44, s14
	v_add_co_ci_u32_e64 v28, s2, s15, v45, s2
	global_load_b64 v[9:10], v[9:10], off
	s_clause 0x1
	global_load_b64 v[46:47], v[205:206], off offset:272
	global_load_b64 v[48:49], v35, s[12:13]
	v_add_co_u32 v50, s2, v27, s14
	s_delay_alu instid0(VALU_DEP_1) | instskip(SKIP_2) | instid1(VALU_DEP_1)
	v_add_co_ci_u32_e64 v51, s2, s15, v28, s2
	global_load_b64 v[33:34], v[33:34], off
	v_add_co_u32 v52, s2, v50, s14
	v_add_co_ci_u32_e64 v53, s2, s15, v51, s2
	global_load_b64 v[35:36], v[36:37], off
	v_add_co_u32 v54, s2, v52, s14
	s_delay_alu instid0(VALU_DEP_1) | instskip(SKIP_2) | instid1(VALU_DEP_1)
	v_add_co_ci_u32_e64 v55, s2, s15, v53, s2
	global_load_b64 v[42:43], v[42:43], off
	v_add_co_u32 v56, s2, v54, s14
	v_add_co_ci_u32_e64 v57, s2, s15, v55, s2
	global_load_b64 v[44:45], v[44:45], off
	s_clause 0x1
	global_load_b64 v[58:59], v[205:206], off offset:2648
	global_load_b64 v[60:61], v[205:206], off offset:3440
	global_load_b64 v[27:28], v[27:28], off
	global_load_b64 v[64:65], v[199:200], off offset:136
	global_load_b64 v[50:51], v[50:51], off
	global_load_b64 v[66:67], v[199:200], off offset:928
	v_mad_u64_u32 v[62:63], null, 0x630, s8, v[56:57]
	s_delay_alu instid0(VALU_DEP_1)
	v_mov_b32_e32 v37, v63
	s_waitcnt vmcnt(20)
	v_mul_f32_e32 v77, v12, v14
	v_mul_f32_e32 v78, v11, v14
	s_waitcnt vmcnt(19)
	v_mul_f32_e32 v14, v1, v16
	v_mul_f32_e32 v16, v0, v16
	v_add_nc_u32_e32 v79, 0x2c00, v244
	v_fmac_f32_e32 v77, v11, v13
	s_waitcnt vmcnt(17)
	v_mul_f32_e32 v11, v26, v20
	v_fma_f32 v78, v12, v13, -v78
	v_fmac_f32_e32 v14, v0, v15
	v_fma_f32 v15, v1, v15, -v16
	s_delay_alu instid0(VALU_DEP_4) | instskip(SKIP_3) | instid1(VALU_DEP_3)
	v_dual_mul_f32 v0, v22, v18 :: v_dual_fmac_f32 v11, v25, v19
	v_mul_f32_e32 v1, v21, v18
	v_mul_f32_e32 v12, v25, v20
	s_waitcnt vmcnt(16)
	v_dual_mul_f32 v13, v32, v24 :: v_dual_fmac_f32 v0, v21, v17
	s_waitcnt vmcnt(14)
	v_mad_u64_u32 v[68:69], null, 0x630, s9, v[37:38]
	global_load_b64 v[52:53], v[52:53], off
	global_load_b64 v[69:70], v[199:200], off offset:1720
	global_load_b64 v[54:55], v[54:55], off
	global_load_b64 v[71:72], v[199:200], off offset:2512
	v_add_nc_u32_e32 v37, 0xc00, v244
	v_dual_mov_b32 v63, v68 :: v_dual_add_nc_u32 v68, 0x2000, v244
	global_load_b64 v[56:57], v[56:57], off
	s_clause 0x1
	global_load_b64 v[73:74], v[199:200], off offset:3304
	global_load_b64 v[75:76], v[203:204], off offset:792
	global_load_b64 v[62:63], v[62:63], off
	ds_store_2addr_b64 v244, v[77:78], v[14:15] offset0:51 offset1:150
	v_mul_f32_e32 v14, v31, v24
	v_fma_f32 v1, v22, v17, -v1
	s_delay_alu instid0(VALU_DEP_2) | instskip(SKIP_4) | instid1(VALU_DEP_3)
	v_fma_f32 v14, v32, v23, -v14
	s_waitcnt vmcnt(18)
	v_mul_f32_e32 v15, v10, v49
	v_fma_f32 v12, v26, v19, -v12
	v_mul_f32_e32 v16, v9, v49
	v_fmac_f32_e32 v15, v9, v48
	ds_store_2addr_b64 v8, v[0:1], v[11:12] offset0:121 offset1:220
	v_mul_f32_e32 v0, v30, v47
	v_mul_f32_e32 v1, v29, v47
	v_fmac_f32_e32 v13, v31, v23
	s_waitcnt vmcnt(16)
	v_dual_mul_f32 v9, v34, v39 :: v_dual_mul_f32 v12, v35, v41
	v_fmac_f32_e32 v0, v29, v46
	v_fma_f32 v1, v30, v46, -v1
	v_fma_f32 v16, v10, v48, -v16
	v_dual_mul_f32 v10, v33, v39 :: v_dual_mul_f32 v11, v36, v41
	v_fma_f32 v12, v36, v40, -v12
	ds_store_2addr_b64 v37, v[13:14], v[0:1] offset0:63 offset1:162
	s_waitcnt vmcnt(12)
	v_dual_mul_f32 v18, v42, v59 :: v_dual_mul_f32 v19, v45, v61
	v_mul_f32_e32 v20, v44, v61
	s_waitcnt vmcnt(8)
	v_dual_mul_f32 v0, v51, v67 :: v_dual_fmac_f32 v9, v33, v38
	v_mul_f32_e32 v17, v43, v59
	v_mul_f32_e32 v1, v27, v65
	v_fma_f32 v10, v34, v38, -v10
	v_fmac_f32_e32 v11, v35, v40
	v_fma_f32 v18, v43, v58, -v18
	v_fmac_f32_e32 v19, v44, v60
	;; [unrolled: 2-line block ×3, first 2 shown]
	v_fmac_f32_e32 v17, v42, v58
	v_mul_f32_e32 v21, v28, v65
	ds_store_2addr_b64 v5, v[9:10], v[11:12] offset0:133 offset1:232
	ds_store_2addr_b64 v3, v[17:18], v[19:20] offset0:75 offset1:174
	s_waitcnt vmcnt(6)
	v_mul_f32_e32 v9, v53, v70
	s_waitcnt vmcnt(4)
	v_dual_mul_f32 v10, v52, v70 :: v_dual_mul_f32 v11, v55, v72
	v_mul_f32_e32 v12, v54, v72
	v_fmac_f32_e32 v21, v27, v64
	s_delay_alu instid0(VALU_DEP_3)
	v_fma_f32 v10, v53, v69, -v10
	s_waitcnt vmcnt(2)
	v_dual_fmac_f32 v11, v54, v71 :: v_dual_mul_f32 v14, v56, v74
	v_fma_f32 v22, v28, v64, -v1
	s_waitcnt vmcnt(0)
	v_mul_f32_e32 v18, v62, v76
	v_mul_f32_e32 v1, v50, v67
	;; [unrolled: 1-line block ×4, first 2 shown]
	v_fmac_f32_e32 v9, v52, v69
	v_fma_f32 v12, v55, v71, -v12
	v_fma_f32 v1, v51, v66, -v1
	v_fmac_f32_e32 v13, v56, v73
	v_fma_f32 v14, v57, v73, -v14
	v_fmac_f32_e32 v17, v62, v75
	v_fma_f32 v18, v63, v75, -v18
	ds_store_2addr_b64 v68, v[21:22], v[0:1] offset0:17 offset1:116
	ds_store_2addr_b64 v4, v[9:10], v[11:12] offset0:87 offset1:186
	;; [unrolled: 1-line block ×3, first 2 shown]
	ds_store_b64 v244, v[17:18] offset:13080
.LBB0_3:
	s_or_b32 exec_lo, exec_lo, s3
	s_waitcnt lgkmcnt(0)
	s_waitcnt_vscnt null, 0x0
	s_barrier
	buffer_gl0_inv
	ds_load_2addr_b64 v[60:63], v244 offset1:99
	ds_load_2addr_b64 v[52:55], v8 offset0:70 offset1:169
	ds_load_2addr_b64 v[44:47], v6 offset0:140 offset1:239
	ds_load_2addr_b64 v[36:39], v5 offset0:82 offset1:181
	ds_load_2addr_b64 v[32:35], v3 offset0:24 offset1:123
	ds_load_2addr_b64 v[40:43], v2 offset0:94 offset1:193
	ds_load_2addr_b64 v[48:51], v4 offset0:36 offset1:135
	ds_load_2addr_b64 v[56:59], v7 offset0:106 offset1:205
	ds_load_b64 v[66:67], v244 offset:12672
	s_load_b64 s[2:3], s[0:1], 0x8
	v_mov_b32_e32 v0, 0
	v_mov_b32_e32 v1, 0
                                        ; kill: def $vgpr2 killed $sgpr0 killed $exec
                                        ; implicit-def: $vgpr14
                                        ; implicit-def: $vgpr8
                                        ; implicit-def: $vgpr4
                                        ; implicit-def: $vgpr64
                                        ; implicit-def: $vgpr22
                                        ; implicit-def: $vgpr30
                                        ; implicit-def: $vgpr18
                                        ; implicit-def: $vgpr26
	s_and_saveexec_b32 s0, vcc_lo
	s_cbranch_execz .LBB0_5
; %bb.4:
	v_add_nc_u32_e32 v4, 0x400, v244
	v_add_nc_u32_e32 v5, 0xc00, v244
	;; [unrolled: 1-line block ×3, first 2 shown]
	ds_load_2addr_b64 v[0:3], v244 offset0:51 offset1:150
	v_add_nc_u32_e32 v7, 0x2400, v244
	ds_load_2addr_b64 v[24:27], v4 offset0:121 offset1:220
	ds_load_2addr_b64 v[16:19], v5 offset0:63 offset1:162
	v_add_nc_u32_e32 v4, 0x1800, v244
	v_add_nc_u32_e32 v5, 0x2000, v244
	;; [unrolled: 1-line block ×3, first 2 shown]
	ds_load_2addr_b64 v[28:31], v6 offset0:133 offset1:232
	ds_load_2addr_b64 v[20:23], v4 offset0:75 offset1:174
	;; [unrolled: 1-line block ×5, first 2 shown]
	ds_load_b64 v[64:65], v244 offset:13080
.LBB0_5:
	s_or_b32 exec_lo, exec_lo, s0
	scratch_load_b32 v122, off, off         ; 4-byte Folded Reload
	s_waitcnt lgkmcnt(0)
	v_dual_add_f32 v68, v60, v62 :: v_dual_add_f32 v69, v61, v63
	v_dual_sub_f32 v72, v62, v66 :: v_dual_add_f32 v73, v67, v63
	s_waitcnt vmcnt(0)
	s_delay_alu instid0(VALU_DEP_2)
	v_dual_add_f32 v68, v68, v52 :: v_dual_add_f32 v69, v69, v53
	s_barrier
	buffer_gl0_inv
	v_dual_sub_f32 v71, v63, v67 :: v_dual_add_f32 v68, v68, v54
	v_mul_f32_e32 v75, 0xbf2c7751, v72
	v_mul_f32_e32 v77, 0xbf65296c, v72
	;; [unrolled: 1-line block ×3, first 2 shown]
	s_delay_alu instid0(VALU_DEP_4)
	v_mul_f32_e32 v74, 0xbf2c7751, v71
	v_mul_f32_e32 v76, 0xbf65296c, v71
	;; [unrolled: 1-line block ×3, first 2 shown]
	v_add_f32_e32 v69, v69, v55
	v_mul_f32_e32 v91, 0xbf4c4adb, v72
	v_mul_f32_e32 v89, 0xbf4c4adb, v71
	;; [unrolled: 1-line block ×3, first 2 shown]
	v_sub_f32_e32 v99, v53, v59
	v_add_f32_e32 v63, v69, v45
	v_mul_f32_e32 v69, 0xbeb8f4ab, v72
	v_fmamk_f32 v93, v73, 0xbf1a4643, v91
	v_fma_f32 v91, 0xbf1a4643, v73, -v91
	v_fmamk_f32 v97, v73, 0xbf59a7d5, v95
	v_add_f32_e32 v63, v63, v47
	v_fma_f32 v95, 0xbf59a7d5, v73, -v95
	v_add_f32_e32 v53, v59, v53
	v_add_f32_e32 v91, v61, v91
	;; [unrolled: 1-line block ×6, first 2 shown]
	v_sub_f32_e32 v103, v20, v22
	s_delay_alu instid0(VALU_DEP_4) | instskip(NEXT) | instid1(VALU_DEP_1)
	v_add_f32_e32 v63, v63, v39
	v_dual_mul_f32 v80, 0xbf763a35, v71 :: v_dual_add_f32 v63, v63, v33
	v_fmamk_f32 v82, v73, 0x3f6eb680, v69
	v_fma_f32 v69, 0x3f6eb680, v73, -v69
	s_delay_alu instid0(VALU_DEP_3) | instskip(NEXT) | instid1(VALU_DEP_2)
	v_add_f32_e32 v63, v63, v35
	v_add_f32_e32 v69, v61, v69
	s_delay_alu instid0(VALU_DEP_2) | instskip(NEXT) | instid1(VALU_DEP_1)
	v_add_f32_e32 v63, v63, v41
	v_add_f32_e32 v63, v63, v43
	s_delay_alu instid0(VALU_DEP_1) | instskip(NEXT) | instid1(VALU_DEP_1)
	v_add_f32_e32 v63, v63, v49
	v_add_f32_e32 v63, v63, v51
	s_delay_alu instid0(VALU_DEP_1) | instskip(NEXT) | instid1(VALU_DEP_1)
	v_add_f32_e32 v63, v63, v57
	v_add_f32_e32 v63, v63, v59
	s_delay_alu instid0(VALU_DEP_1) | instskip(SKIP_1) | instid1(VALU_DEP_1)
	v_add_f32_e32 v63, v63, v67
	v_add_co_u32 v182, s0, v122, 51
	v_add_co_ci_u32_e64 v70, null, 0, 0, s0
	v_add_f32_e32 v70, v66, v62
	v_add_f32_e32 v62, v68, v44
	v_mul_f32_e32 v68, 0xbeb8f4ab, v71
	v_mul_lo_u16 v122, v122, 17
	s_delay_alu instid0(VALU_DEP_4) | instskip(NEXT) | instid1(VALU_DEP_4)
	v_fma_f32 v85, 0x3ee437d1, v70, -v76
	v_add_f32_e32 v62, v62, v46
	s_delay_alu instid0(VALU_DEP_4)
	v_fma_f32 v81, 0x3f6eb680, v70, -v68
	v_fmac_f32_e32 v68, 0x3f6eb680, v70
	v_fmamk_f32 v84, v73, 0x3f3d2fb0, v75
	v_fma_f32 v75, 0x3f3d2fb0, v73, -v75
	v_add_f32_e32 v62, v62, v36
	v_fmac_f32_e32 v76, 0x3ee437d1, v70
	v_fma_f32 v83, 0x3f3d2fb0, v70, -v74
	v_fmamk_f32 v86, v73, 0x3ee437d1, v77
	s_delay_alu instid0(VALU_DEP_4) | instskip(SKIP_3) | instid1(VALU_DEP_4)
	v_dual_add_f32 v75, v61, v75 :: v_dual_add_f32 v62, v62, v38
	v_fmac_f32_e32 v74, 0x3f3d2fb0, v70
	v_fma_f32 v87, 0x3dbcf732, v70, -v78
	v_dual_fmamk_f32 v88, v73, 0x3dbcf732, v79 :: v_dual_add_f32 v85, v60, v85
	v_dual_add_f32 v62, v62, v32 :: v_dual_add_f32 v83, v60, v83
	v_add_f32_e32 v86, v61, v86
	v_add_f32_e32 v76, v60, v76
	v_fma_f32 v92, 0xbf1a4643, v70, -v89
	v_fmac_f32_e32 v89, 0xbf1a4643, v70
	v_add_f32_e32 v62, v62, v34
	v_fmac_f32_e32 v78, 0x3dbcf732, v70
	v_dual_add_f32 v82, v61, v82 :: v_dual_add_f32 v87, v60, v87
	v_add_f32_e32 v74, v60, v74
	s_delay_alu instid0(VALU_DEP_4) | instskip(NEXT) | instid1(VALU_DEP_4)
	v_dual_add_f32 v62, v62, v40 :: v_dual_add_f32 v89, v60, v89
	v_add_f32_e32 v78, v60, v78
	v_fma_f32 v77, 0x3ee437d1, v73, -v77
	v_add_f32_e32 v92, v60, v92
	s_delay_alu instid0(VALU_DEP_4) | instskip(SKIP_3) | instid1(VALU_DEP_4)
	v_add_f32_e32 v62, v62, v42
	v_fma_f32 v67, 0xbe8c1d8e, v70, -v80
	v_dual_fmac_f32 v80, 0xbe8c1d8e, v70 :: v_dual_add_f32 v81, v60, v81
	v_dual_add_f32 v68, v60, v68 :: v_dual_add_f32 v77, v61, v77
	v_add_f32_e32 v62, v62, v48
	s_delay_alu instid0(VALU_DEP_4) | instskip(NEXT) | instid1(VALU_DEP_4)
	v_dual_add_f32 v84, v61, v84 :: v_dual_add_f32 v67, v60, v67
	v_add_f32_e32 v80, v60, v80
	s_delay_alu instid0(VALU_DEP_3) | instskip(NEXT) | instid1(VALU_DEP_1)
	v_add_f32_e32 v62, v62, v50
	v_add_f32_e32 v62, v62, v56
	s_delay_alu instid0(VALU_DEP_1) | instskip(NEXT) | instid1(VALU_DEP_1)
	v_add_f32_e32 v62, v62, v58
	v_add_f32_e32 v62, v62, v66
	v_fma_f32 v66, 0x3dbcf732, v73, -v79
	v_add_f32_e32 v79, v61, v88
	v_mul_f32_e32 v88, 0xbf763a35, v72
	v_mul_f32_e32 v72, 0xbe3c28d5, v72
	s_delay_alu instid0(VALU_DEP_4) | instskip(NEXT) | instid1(VALU_DEP_3)
	v_add_f32_e32 v66, v61, v66
	v_fmamk_f32 v90, v73, 0xbe8c1d8e, v88
	s_delay_alu instid0(VALU_DEP_3)
	v_fmamk_f32 v100, v73, 0xbf7ba420, v72
	v_mul_f32_e32 v94, 0xbf06c442, v71
	v_fma_f32 v88, 0xbe8c1d8e, v73, -v88
	v_mul_f32_e32 v71, 0xbe3c28d5, v71
	v_fma_f32 v72, 0xbf7ba420, v73, -v72
	v_add_f32_e32 v73, v61, v100
	v_fma_f32 v96, 0xbf59a7d5, v70, -v94
	v_add_f32_e32 v88, v61, v88
	v_fmac_f32_e32 v94, 0xbf59a7d5, v70
	v_fma_f32 v98, 0xbf7ba420, v70, -v71
	s_delay_alu instid0(VALU_DEP_4) | instskip(SKIP_4) | instid1(VALU_DEP_4)
	v_dual_fmac_f32 v71, 0xbf7ba420, v70 :: v_dual_add_f32 v96, v60, v96
	v_sub_f32_e32 v70, v52, v58
	v_add_f32_e32 v52, v58, v52
	v_mul_f32_e32 v58, 0xbf2c7751, v99
	v_add_f32_e32 v98, v60, v98
	v_mul_f32_e32 v59, 0xbf2c7751, v70
	v_mul_f32_e32 v101, 0xbf4c4adb, v70
	s_delay_alu instid0(VALU_DEP_4)
	v_fma_f32 v100, 0x3f3d2fb0, v52, -v58
	v_add_f32_e32 v90, v61, v90
	v_dual_add_f32 v61, v61, v72 :: v_dual_add_f32 v94, v60, v94
	v_dual_add_f32 v60, v60, v71 :: v_dual_fmamk_f32 v71, v53, 0x3f3d2fb0, v59
	v_mul_f32_e32 v72, 0xbf7ee86f, v99
	v_dual_fmac_f32 v58, 0x3f3d2fb0, v52 :: v_dual_add_f32 v81, v100, v81
	v_fma_f32 v59, 0x3f3d2fb0, v53, -v59
	s_delay_alu instid0(VALU_DEP_4) | instskip(NEXT) | instid1(VALU_DEP_4)
	v_add_f32_e32 v71, v71, v82
	v_fma_f32 v82, 0x3dbcf732, v52, -v72
	v_mul_f32_e32 v100, 0xbf7ee86f, v70
	v_add_f32_e32 v58, v58, v68
	v_dual_mul_f32 v68, 0xbf4c4adb, v99 :: v_dual_add_f32 v59, v59, v69
	s_delay_alu instid0(VALU_DEP_3) | instskip(SKIP_2) | instid1(VALU_DEP_4)
	v_dual_add_f32 v69, v82, v83 :: v_dual_fmamk_f32 v82, v53, 0x3dbcf732, v100
	v_fmac_f32_e32 v72, 0x3dbcf732, v52
	v_fma_f32 v83, 0x3dbcf732, v53, -v100
	v_fma_f32 v100, 0xbf1a4643, v52, -v68
	v_fmac_f32_e32 v68, 0xbf1a4643, v52
	v_add_f32_e32 v82, v82, v84
	v_add_f32_e32 v72, v72, v74
	s_delay_alu instid0(VALU_DEP_4)
	v_dual_add_f32 v74, v83, v75 :: v_dual_add_f32 v75, v100, v85
	v_fmamk_f32 v83, v53, 0xbf1a4643, v101
	v_mul_f32_e32 v84, 0xbe3c28d5, v99
	v_fma_f32 v85, 0xbf1a4643, v53, -v101
	v_mul_f32_e32 v100, 0xbe3c28d5, v70
	v_dual_add_f32 v68, v68, v76 :: v_dual_mul_f32 v101, 0x3f763a35, v70
	v_add_f32_e32 v83, v83, v86
	v_fma_f32 v86, 0xbf7ba420, v52, -v84
	v_add_f32_e32 v76, v85, v77
	v_fmamk_f32 v77, v53, 0xbf7ba420, v100
	v_mul_f32_e32 v85, 0x3f06c442, v99
	v_fmac_f32_e32 v84, 0xbf7ba420, v52
	v_add_f32_e32 v86, v86, v87
	v_fma_f32 v87, 0xbf7ba420, v53, -v100
	v_add_f32_e32 v77, v77, v79
	v_fma_f32 v79, 0xbf59a7d5, v52, -v85
	v_mul_f32_e32 v100, 0x3f06c442, v70
	v_add_f32_e32 v78, v84, v78
	v_mul_f32_e32 v84, 0x3f763a35, v99
	v_add_f32_e32 v66, v87, v66
	v_add_f32_e32 v67, v79, v67
	v_fmamk_f32 v79, v53, 0xbf59a7d5, v100
	v_fmac_f32_e32 v85, 0xbf59a7d5, v52
	v_fma_f32 v87, 0xbf59a7d5, v53, -v100
	v_fma_f32 v100, 0xbe8c1d8e, v52, -v84
	s_delay_alu instid0(VALU_DEP_4) | instskip(NEXT) | instid1(VALU_DEP_4)
	v_dual_fmac_f32 v84, 0xbe8c1d8e, v52 :: v_dual_add_f32 v79, v79, v90
	v_add_f32_e32 v80, v85, v80
	s_delay_alu instid0(VALU_DEP_4) | instskip(NEXT) | instid1(VALU_DEP_4)
	v_add_f32_e32 v85, v87, v88
	v_dual_add_f32 v87, v100, v92 :: v_dual_mul_f32 v92, 0x3f65296c, v70
	s_delay_alu instid0(VALU_DEP_4)
	v_add_f32_e32 v84, v84, v89
	v_fmamk_f32 v88, v53, 0xbe8c1d8e, v101
	v_mul_f32_e32 v90, 0x3f65296c, v99
	v_mul_f32_e32 v99, 0x3eb8f4ab, v99
	v_fmamk_f32 v89, v53, 0x3ee437d1, v92
	v_fma_f32 v92, 0x3ee437d1, v53, -v92
	v_mul_f32_e32 v70, 0x3eb8f4ab, v70
	v_fma_f32 v100, 0xbe8c1d8e, v53, -v101
	s_delay_alu instid0(VALU_DEP_4) | instskip(SKIP_2) | instid1(VALU_DEP_2)
	v_add_f32_e32 v89, v89, v97
	v_dual_add_f32 v97, v56, v54 :: v_dual_sub_f32 v54, v54, v56
	v_add_f32_e32 v92, v92, v95
	v_dual_add_f32 v91, v100, v91 :: v_dual_mul_f32 v56, 0xbf65296c, v54
	v_add_f32_e32 v88, v88, v93
	v_fma_f32 v93, 0x3ee437d1, v52, -v90
	v_fmac_f32_e32 v90, 0x3ee437d1, v52
	s_delay_alu instid0(VALU_DEP_2) | instskip(SKIP_3) | instid1(VALU_DEP_3)
	v_add_f32_e32 v93, v93, v96
	v_fma_f32 v96, 0x3f6eb680, v52, -v99
	v_fmac_f32_e32 v99, 0x3f6eb680, v52
	v_fma_f32 v52, 0x3f6eb680, v53, -v70
	v_dual_add_f32 v95, v96, v98 :: v_dual_fmamk_f32 v96, v53, 0x3f6eb680, v70
	v_dual_add_f32 v53, v57, v55 :: v_dual_add_f32 v90, v90, v94
	v_sub_f32_e32 v94, v55, v57
	s_delay_alu instid0(VALU_DEP_4) | instskip(NEXT) | instid1(VALU_DEP_4)
	v_add_f32_e32 v52, v52, v61
	v_add_f32_e32 v57, v96, v73
	s_delay_alu instid0(VALU_DEP_4)
	v_fmamk_f32 v61, v53, 0x3ee437d1, v56
	v_fma_f32 v56, 0x3ee437d1, v53, -v56
	v_mul_f32_e32 v98, 0xbf65296c, v94
	v_mul_f32_e32 v70, 0xbf4c4adb, v94
	;; [unrolled: 1-line block ×3, first 2 shown]
	v_add_f32_e32 v61, v61, v71
	v_add_f32_e32 v56, v56, v59
	v_fma_f32 v55, 0x3ee437d1, v97, -v98
	v_fma_f32 v71, 0xbf1a4643, v97, -v70
	v_dual_fmamk_f32 v59, v53, 0xbf1a4643, v73 :: v_dual_fmac_f32 v70, 0xbf1a4643, v97
	s_delay_alu instid0(VALU_DEP_3) | instskip(SKIP_1) | instid1(VALU_DEP_4)
	v_add_f32_e32 v55, v55, v81
	v_mul_f32_e32 v81, 0x3e3c28d5, v94
	v_add_f32_e32 v69, v71, v69
	v_fma_f32 v71, 0xbf1a4643, v53, -v73
	v_add_f32_e32 v59, v59, v82
	s_delay_alu instid0(VALU_DEP_4) | instskip(SKIP_3) | instid1(VALU_DEP_4)
	v_fma_f32 v73, 0xbf7ba420, v97, -v81
	v_fmac_f32_e32 v81, 0xbf7ba420, v97
	v_mul_f32_e32 v82, 0x3e3c28d5, v54
	v_add_f32_e32 v71, v71, v74
	v_dual_mul_f32 v96, 0x3f763a35, v54 :: v_dual_add_f32 v73, v73, v75
	s_delay_alu instid0(VALU_DEP_4) | instskip(NEXT) | instid1(VALU_DEP_4)
	v_add_f32_e32 v68, v81, v68
	v_fmamk_f32 v74, v53, 0xbf7ba420, v82
	v_fma_f32 v75, 0xbf7ba420, v53, -v82
	s_delay_alu instid0(VALU_DEP_4) | instskip(NEXT) | instid1(VALU_DEP_3)
	v_dual_fmamk_f32 v81, v53, 0xbe8c1d8e, v96 :: v_dual_add_f32 v60, v99, v60
	v_add_f32_e32 v74, v74, v83
	v_fma_f32 v83, 0xbe8c1d8e, v53, -v96
	v_mul_f32_e32 v96, 0xbf7ee86f, v54
	v_add_f32_e32 v70, v70, v72
	v_dual_mul_f32 v72, 0x3f763a35, v94 :: v_dual_add_f32 v75, v75, v76
	s_delay_alu instid0(VALU_DEP_4) | instskip(SKIP_1) | instid1(VALU_DEP_3)
	v_dual_add_f32 v77, v81, v77 :: v_dual_add_f32 v66, v83, v66
	v_mul_f32_e32 v83, 0xbeb8f4ab, v94
	v_fma_f32 v82, 0xbe8c1d8e, v97, -v72
	v_fmac_f32_e32 v72, 0xbe8c1d8e, v97
	s_delay_alu instid0(VALU_DEP_2) | instskip(SKIP_2) | instid1(VALU_DEP_4)
	v_add_f32_e32 v76, v82, v86
	v_mul_f32_e32 v82, 0x3f2c7751, v94
	v_mul_f32_e32 v86, 0x3f2c7751, v54
	v_add_f32_e32 v72, v72, v78
	s_delay_alu instid0(VALU_DEP_3) | instskip(NEXT) | instid1(VALU_DEP_3)
	v_fma_f32 v81, 0x3f3d2fb0, v97, -v82
	v_fmamk_f32 v78, v53, 0x3f3d2fb0, v86
	s_delay_alu instid0(VALU_DEP_2) | instskip(SKIP_2) | instid1(VALU_DEP_4)
	v_dual_fmac_f32 v82, 0x3f3d2fb0, v97 :: v_dual_add_f32 v67, v81, v67
	v_fma_f32 v81, 0x3f3d2fb0, v53, -v86
	v_mul_f32_e32 v86, 0xbeb8f4ab, v54
	v_add_f32_e32 v78, v78, v79
	v_fma_f32 v79, 0x3f6eb680, v97, -v83
	s_delay_alu instid0(VALU_DEP_4) | instskip(NEXT) | instid1(VALU_DEP_4)
	v_dual_add_f32 v80, v82, v80 :: v_dual_add_f32 v81, v81, v85
	v_fmamk_f32 v85, v53, 0x3f6eb680, v86
	v_fmac_f32_e32 v98, 0x3ee437d1, v97
	v_mul_f32_e32 v82, 0xbf7ee86f, v94
	v_fmac_f32_e32 v83, 0x3f6eb680, v97
	v_fma_f32 v86, 0x3f6eb680, v53, -v86
	s_delay_alu instid0(VALU_DEP_4) | instskip(SKIP_2) | instid1(VALU_DEP_4)
	v_dual_add_f32 v85, v85, v88 :: v_dual_add_f32 v58, v98, v58
	v_add_f32_e32 v79, v79, v87
	v_fma_f32 v87, 0x3dbcf732, v97, -v82
	v_dual_add_f32 v83, v83, v84 :: v_dual_add_f32 v84, v86, v91
	v_fmac_f32_e32 v82, 0x3dbcf732, v97
	v_fma_f32 v91, 0x3dbcf732, v53, -v96
	v_mul_f32_e32 v88, 0xbf06c442, v94
	v_mul_f32_e32 v54, 0xbf06c442, v54
	v_sub_f32_e32 v94, v16, v10
	v_add_f32_e32 v82, v82, v90
	v_dual_add_f32 v90, v91, v92 :: v_dual_sub_f32 v91, v45, v51
	v_dual_add_f32 v86, v87, v93 :: v_dual_fmamk_f32 v87, v53, 0x3dbcf732, v96
	v_fmamk_f32 v93, v53, 0xbf59a7d5, v54
	v_fma_f32 v53, 0xbf59a7d5, v53, -v54
	v_dual_add_f32 v45, v51, v45 :: v_dual_sub_f32 v96, v28, v14
	s_delay_alu instid0(VALU_DEP_4) | instskip(SKIP_4) | instid1(VALU_DEP_4)
	v_add_f32_e32 v87, v87, v89
	v_fma_f32 v89, 0xbf59a7d5, v97, -v88
	v_fmac_f32_e32 v88, 0xbf59a7d5, v97
	v_dual_add_f32 v52, v53, v52 :: v_dual_mul_f32 v53, 0xbe3c28d5, v91
	v_add_f32_e32 v57, v93, v57
	v_dual_add_f32 v89, v89, v95 :: v_dual_add_f32 v92, v50, v44
	v_sub_f32_e32 v44, v44, v50
	v_mul_f32_e32 v50, 0xbf7ee86f, v91
	v_add_f32_e32 v60, v88, v60
	v_sub_f32_e32 v98, v30, v12
	s_delay_alu instid0(VALU_DEP_4) | instskip(NEXT) | instid1(VALU_DEP_4)
	v_mul_f32_e32 v51, 0xbf7ee86f, v44
	v_fma_f32 v54, 0x3dbcf732, v92, -v50
	v_fmac_f32_e32 v50, 0x3dbcf732, v92
	s_delay_alu instid0(VALU_DEP_3) | instskip(NEXT) | instid1(VALU_DEP_3)
	v_fmamk_f32 v88, v45, 0x3dbcf732, v51
	v_add_f32_e32 v54, v54, v55
	v_fma_f32 v55, 0xbf7ba420, v92, -v53
	v_fmac_f32_e32 v53, 0xbf7ba420, v92
	v_fma_f32 v51, 0x3dbcf732, v45, -v51
	v_dual_add_f32 v61, v88, v61 :: v_dual_add_f32 v50, v50, v58
	s_delay_alu instid0(VALU_DEP_4) | instskip(NEXT) | instid1(VALU_DEP_4)
	v_dual_add_f32 v55, v55, v69 :: v_dual_mul_f32 v88, 0xbe3c28d5, v44
	v_add_f32_e32 v53, v53, v70
	s_delay_alu instid0(VALU_DEP_2) | instskip(SKIP_1) | instid1(VALU_DEP_2)
	v_dual_add_f32 v51, v51, v56 :: v_dual_fmamk_f32 v58, v45, 0xbf7ba420, v88
	v_fma_f32 v69, 0xbf7ba420, v45, -v88
	v_add_f32_e32 v58, v58, v59
	v_mul_f32_e32 v56, 0x3f763a35, v91
	s_delay_alu instid0(VALU_DEP_3) | instskip(SKIP_1) | instid1(VALU_DEP_3)
	v_dual_add_f32 v59, v69, v71 :: v_dual_mul_f32 v88, 0x3f763a35, v44
	v_mul_f32_e32 v71, 0x3eb8f4ab, v91
	v_fma_f32 v93, 0xbe8c1d8e, v92, -v56
	s_delay_alu instid0(VALU_DEP_3) | instskip(NEXT) | instid1(VALU_DEP_2)
	v_fmamk_f32 v69, v45, 0xbe8c1d8e, v88
	v_add_f32_e32 v70, v93, v73
	v_fma_f32 v73, 0xbe8c1d8e, v45, -v88
	v_fma_f32 v88, 0x3f6eb680, v92, -v71
	v_fmac_f32_e32 v71, 0x3f6eb680, v92
	v_dual_add_f32 v69, v69, v74 :: v_dual_fmac_f32 v56, 0xbe8c1d8e, v92
	s_delay_alu instid0(VALU_DEP_3) | instskip(NEXT) | instid1(VALU_DEP_3)
	v_add_f32_e32 v76, v88, v76
	v_add_f32_e32 v71, v71, v72
	v_mul_f32_e32 v74, 0x3eb8f4ab, v44
	s_delay_alu instid0(VALU_DEP_4)
	v_add_f32_e32 v56, v56, v68
	v_add_f32_e32 v68, v73, v75
	v_mul_f32_e32 v73, 0xbf65296c, v91
	v_mul_f32_e32 v72, 0xbf06c442, v91
	v_fmamk_f32 v75, v45, 0x3f6eb680, v74
	v_fma_f32 v74, 0x3f6eb680, v45, -v74
	s_delay_alu instid0(VALU_DEP_4) | instskip(NEXT) | instid1(VALU_DEP_4)
	v_fma_f32 v88, 0x3ee437d1, v92, -v73
	v_fma_f32 v93, 0xbf59a7d5, v92, -v72
	s_delay_alu instid0(VALU_DEP_4) | instskip(NEXT) | instid1(VALU_DEP_4)
	v_add_f32_e32 v75, v75, v77
	v_dual_mul_f32 v77, 0xbf65296c, v44 :: v_dual_add_f32 v66, v74, v66
	s_delay_alu instid0(VALU_DEP_4) | instskip(SKIP_2) | instid1(VALU_DEP_4)
	v_add_f32_e32 v67, v88, v67
	v_fmac_f32_e32 v73, 0x3ee437d1, v92
	v_add_f32_e32 v79, v93, v79
	v_fmamk_f32 v74, v45, 0x3ee437d1, v77
	v_fma_f32 v77, 0x3ee437d1, v45, -v77
	v_fmac_f32_e32 v72, 0xbf59a7d5, v92
	v_add_f32_e32 v73, v73, v80
	v_sub_f32_e32 v93, v18, v8
	s_delay_alu instid0(VALU_DEP_4) | instskip(SKIP_4) | instid1(VALU_DEP_4)
	v_dual_add_f32 v74, v74, v78 :: v_dual_add_f32 v77, v77, v81
	v_mul_f32_e32 v88, 0xbf06c442, v44
	v_add_f32_e32 v72, v72, v83
	v_mul_f32_e32 v80, 0x3f4c4adb, v91
	v_mul_f32_e32 v83, 0x3f2c7751, v91
	v_dual_sub_f32 v91, v24, v6 :: v_dual_fmamk_f32 v78, v45, 0xbf59a7d5, v88
	v_fma_f32 v81, 0xbf59a7d5, v45, -v88
	s_delay_alu instid0(VALU_DEP_4) | instskip(SKIP_1) | instid1(VALU_DEP_4)
	v_fma_f32 v88, 0xbf1a4643, v92, -v80
	v_fmac_f32_e32 v80, 0xbf1a4643, v92
	v_dual_add_f32 v78, v78, v85 :: v_dual_mul_f32 v85, 0x3f4c4adb, v44
	s_delay_alu instid0(VALU_DEP_3) | instskip(SKIP_2) | instid1(VALU_DEP_4)
	v_dual_add_f32 v81, v81, v84 :: v_dual_add_f32 v86, v88, v86
	v_fma_f32 v88, 0x3f3d2fb0, v92, -v83
	v_mul_f32_e32 v44, 0x3f2c7751, v44
	v_fmamk_f32 v84, v45, 0xbf1a4643, v85
	v_fma_f32 v85, 0xbf1a4643, v45, -v85
	v_add_f32_e32 v80, v80, v82
	s_delay_alu instid0(VALU_DEP_2)
	v_dual_add_f32 v82, v85, v90 :: v_dual_add_f32 v85, v88, v89
	v_dual_sub_f32 v89, v46, v48 :: v_dual_fmamk_f32 v88, v45, 0x3f3d2fb0, v44
	v_fmac_f32_e32 v83, 0x3f3d2fb0, v92
	v_fma_f32 v44, 0x3f3d2fb0, v45, -v44
	v_add_f32_e32 v45, v49, v47
	v_dual_add_f32 v84, v84, v87 :: v_dual_sub_f32 v87, v47, v49
	v_dual_mul_f32 v47, 0xbf763a35, v89 :: v_dual_add_f32 v46, v48, v46
	v_add_f32_e32 v60, v83, v60
	v_add_f32_e32 v44, v44, v52
	s_delay_alu instid0(VALU_DEP_4) | instskip(NEXT) | instid1(VALU_DEP_4)
	v_mul_f32_e32 v48, 0xbf763a35, v87
	v_fmamk_f32 v52, v45, 0xbe8c1d8e, v47
	v_fma_f32 v47, 0xbe8c1d8e, v45, -v47
	v_add_f32_e32 v49, v88, v57
	v_mul_f32_e32 v83, 0x3f06c442, v87
	v_fma_f32 v57, 0xbe8c1d8e, v46, -v48
	s_delay_alu instid0(VALU_DEP_4) | instskip(SKIP_1) | instid1(VALU_DEP_3)
	v_dual_add_f32 v52, v52, v61 :: v_dual_add_f32 v47, v47, v51
	v_fmac_f32_e32 v48, 0xbe8c1d8e, v46
	v_dual_mul_f32 v61, 0x3f06c442, v89 :: v_dual_add_f32 v54, v57, v54
	v_fma_f32 v57, 0xbf59a7d5, v46, -v83
	v_fmac_f32_e32 v83, 0xbf59a7d5, v46
	s_delay_alu instid0(VALU_DEP_4) | instskip(SKIP_1) | instid1(VALU_DEP_4)
	v_add_f32_e32 v48, v48, v50
	v_mul_f32_e32 v50, 0x3f2c7751, v87
	v_dual_sub_f32 v92, v26, v4 :: v_dual_add_f32 v51, v57, v55
	v_fmamk_f32 v55, v45, 0xbf59a7d5, v61
	v_fma_f32 v57, 0xbf59a7d5, v45, -v61
	s_delay_alu instid0(VALU_DEP_4)
	v_fma_f32 v61, 0x3f3d2fb0, v46, -v50
	v_mul_f32_e32 v88, 0x3f2c7751, v89
	v_add_f32_e32 v53, v83, v53
	v_add_f32_e32 v55, v55, v58
	;; [unrolled: 1-line block ×4, first 2 shown]
	v_fmamk_f32 v59, v45, 0x3f3d2fb0, v88
	v_mul_f32_e32 v61, 0xbf65296c, v87
	v_fmac_f32_e32 v50, 0x3f3d2fb0, v46
	v_fma_f32 v70, 0x3f3d2fb0, v45, -v88
	v_mul_f32_e32 v83, 0xbf65296c, v89
	v_add_f32_e32 v59, v59, v69
	v_fma_f32 v69, 0x3ee437d1, v46, -v61
	v_add_f32_e32 v50, v50, v56
	v_add_f32_e32 v56, v70, v68
	v_fmamk_f32 v68, v45, 0x3ee437d1, v83
	v_mul_f32_e32 v70, 0xbe3c28d5, v87
	v_fmac_f32_e32 v61, 0x3ee437d1, v46
	v_add_f32_e32 v69, v69, v76
	v_fma_f32 v76, 0x3ee437d1, v45, -v83
	v_add_f32_e32 v68, v68, v75
	v_fma_f32 v75, 0xbf7ba420, v46, -v70
	v_mul_f32_e32 v83, 0xbe3c28d5, v89
	v_add_f32_e32 v61, v61, v71
	v_dual_mul_f32 v71, 0x3f7ee86f, v87 :: v_dual_add_f32 v66, v76, v66
	s_delay_alu instid0(VALU_DEP_4) | instskip(NEXT) | instid1(VALU_DEP_4)
	v_add_f32_e32 v67, v75, v67
	v_fmamk_f32 v75, v45, 0xbf7ba420, v83
	v_fma_f32 v76, 0xbf7ba420, v45, -v83
	s_delay_alu instid0(VALU_DEP_4) | instskip(SKIP_3) | instid1(VALU_DEP_4)
	v_fma_f32 v83, 0x3dbcf732, v46, -v71
	v_mul_f32_e32 v88, 0x3f7ee86f, v89
	v_sub_f32_e32 v90, v29, v15
	v_add_f32_e32 v74, v75, v74
	v_add_f32_e32 v75, v83, v79
	v_mul_f32_e32 v79, 0xbeb8f4ab, v89
	v_fmac_f32_e32 v70, 0xbf7ba420, v46
	v_fmac_f32_e32 v71, 0x3dbcf732, v46
	v_fma_f32 v83, 0x3dbcf732, v45, -v88
	s_delay_alu instid0(VALU_DEP_3) | instskip(SKIP_4) | instid1(VALU_DEP_4)
	v_add_f32_e32 v70, v70, v73
	v_dual_add_f32 v73, v76, v77 :: v_dual_fmamk_f32 v76, v45, 0x3dbcf732, v88
	v_mul_f32_e32 v77, 0xbeb8f4ab, v87
	v_dual_add_f32 v71, v71, v72 :: v_dual_fmamk_f32 v72, v45, 0x3f6eb680, v79
	v_add_f32_e32 v81, v83, v81
	v_dual_mul_f32 v83, 0xbf4c4adb, v87 :: v_dual_add_f32 v76, v76, v78
	s_delay_alu instid0(VALU_DEP_4) | instskip(NEXT) | instid1(VALU_DEP_4)
	v_fma_f32 v78, 0x3f6eb680, v46, -v77
	v_dual_fmac_f32 v77, 0x3f6eb680, v46 :: v_dual_add_f32 v72, v72, v84
	v_fma_f32 v79, 0x3f6eb680, v45, -v79
	s_delay_alu instid0(VALU_DEP_4) | instskip(SKIP_1) | instid1(VALU_DEP_4)
	v_fma_f32 v84, 0xbf1a4643, v46, -v83
	v_fmac_f32_e32 v83, 0xbf1a4643, v46
	v_add_f32_e32 v77, v77, v80
	s_delay_alu instid0(VALU_DEP_4) | instskip(NEXT) | instid1(VALU_DEP_4)
	v_dual_sub_f32 v88, v17, v11 :: v_dual_add_f32 v79, v79, v82
	v_dual_add_f32 v82, v84, v85 :: v_dual_add_f32 v85, v42, v36
	v_sub_f32_e32 v80, v37, v43
	v_sub_f32_e32 v36, v36, v42
	v_add_f32_e32 v78, v78, v86
	v_mul_f32_e32 v86, 0xbf4c4adb, v89
	v_add_f32_e32 v37, v43, v37
	v_mul_f32_e32 v87, 0xbf4c4adb, v80
	s_delay_alu instid0(VALU_DEP_3) | instskip(SKIP_1) | instid1(VALU_DEP_3)
	v_dual_sub_f32 v89, v19, v9 :: v_dual_fmamk_f32 v84, v45, 0xbf1a4643, v86
	v_fma_f32 v42, 0xbf1a4643, v45, -v86
	v_fma_f32 v43, 0xbf1a4643, v85, -v87
	v_mul_f32_e32 v45, 0xbf4c4adb, v36
	v_fmac_f32_e32 v87, 0xbf1a4643, v85
	v_add_f32_e32 v46, v84, v49
	s_delay_alu instid0(VALU_DEP_4) | instskip(NEXT) | instid1(VALU_DEP_4)
	v_dual_add_f32 v42, v42, v44 :: v_dual_add_f32 v43, v43, v54
	v_fmamk_f32 v44, v37, 0xbf1a4643, v45
	v_mul_f32_e32 v54, 0x3f763a35, v80
	v_add_f32_e32 v49, v83, v60
	v_fma_f32 v45, 0xbf1a4643, v37, -v45
	v_mul_f32_e32 v60, 0x3f763a35, v36
	v_add_f32_e32 v44, v44, v52
	v_fma_f32 v52, 0xbe8c1d8e, v85, -v54
	v_mul_f32_e32 v83, 0xbeb8f4ab, v80
	v_add_f32_e32 v45, v45, v47
	v_fmamk_f32 v47, v37, 0xbe8c1d8e, v60
	v_sub_f32_e32 v86, v21, v23
	v_dual_add_f32 v51, v52, v51 :: v_dual_fmac_f32 v54, 0xbe8c1d8e, v85
	v_fma_f32 v52, 0xbe8c1d8e, v37, -v60
	s_delay_alu instid0(VALU_DEP_4) | instskip(SKIP_1) | instid1(VALU_DEP_4)
	v_dual_mul_f32 v60, 0xbeb8f4ab, v36 :: v_dual_add_f32 v47, v47, v55
	v_fma_f32 v55, 0x3f6eb680, v85, -v83
	v_add_f32_e32 v53, v54, v53
	s_delay_alu instid0(VALU_DEP_4)
	v_add_f32_e32 v52, v52, v57
	v_mul_f32_e32 v54, 0xbf06c442, v80
	v_fmamk_f32 v57, v37, 0x3f6eb680, v60
	v_add_f32_e32 v55, v55, v58
	v_fmac_f32_e32 v83, 0x3f6eb680, v85
	v_fma_f32 v58, 0x3f6eb680, v37, -v60
	v_fma_f32 v60, 0xbf59a7d5, v85, -v54
	v_dual_add_f32 v57, v57, v59 :: v_dual_mul_f32 v84, 0xbf06c442, v36
	s_delay_alu instid0(VALU_DEP_4) | instskip(NEXT) | instid1(VALU_DEP_4)
	v_add_f32_e32 v50, v83, v50
	v_add_f32_e32 v56, v58, v56
	s_delay_alu instid0(VALU_DEP_4) | instskip(SKIP_3) | instid1(VALU_DEP_3)
	v_add_f32_e32 v58, v60, v69
	v_fmac_f32_e32 v54, 0xbf59a7d5, v85
	v_fma_f32 v69, 0xbf59a7d5, v37, -v84
	v_mul_f32_e32 v83, 0x3f7ee86f, v36
	v_dual_fmamk_f32 v59, v37, 0xbf59a7d5, v84 :: v_dual_add_f32 v54, v54, v61
	s_delay_alu instid0(VALU_DEP_3) | instskip(NEXT) | instid1(VALU_DEP_3)
	v_add_f32_e32 v61, v69, v66
	v_fmamk_f32 v66, v37, 0x3dbcf732, v83
	v_mul_f32_e32 v69, 0xbf2c7751, v80
	s_delay_alu instid0(VALU_DEP_2) | instskip(NEXT) | instid1(VALU_DEP_2)
	v_dual_add_f32 v59, v59, v68 :: v_dual_add_f32 v66, v66, v74
	v_fma_f32 v74, 0x3f3d2fb0, v85, -v69
	v_fmac_f32_e32 v69, 0x3f3d2fb0, v85
	s_delay_alu instid0(VALU_DEP_1) | instskip(NEXT) | instid1(VALU_DEP_1)
	v_dual_mul_f32 v60, 0x3f7ee86f, v80 :: v_dual_add_f32 v69, v69, v71
	v_fma_f32 v68, 0x3dbcf732, v85, -v60
	s_delay_alu instid0(VALU_DEP_1) | instskip(SKIP_1) | instid1(VALU_DEP_2)
	v_dual_fmac_f32 v60, 0x3dbcf732, v85 :: v_dual_add_f32 v67, v68, v67
	v_fma_f32 v68, 0x3dbcf732, v37, -v83
	v_dual_mul_f32 v83, 0xbf2c7751, v36 :: v_dual_add_f32 v60, v60, v70
	v_mul_f32_e32 v70, 0xbe3c28d5, v80
	s_delay_alu instid0(VALU_DEP_3) | instskip(NEXT) | instid1(VALU_DEP_3)
	v_dual_add_f32 v68, v68, v73 :: v_dual_add_f32 v73, v74, v75
	v_fmamk_f32 v74, v37, 0x3f3d2fb0, v83
	v_fma_f32 v75, 0x3f3d2fb0, v37, -v83
	s_delay_alu instid0(VALU_DEP_4) | instskip(SKIP_1) | instid1(VALU_DEP_3)
	v_fma_f32 v83, 0xbf7ba420, v85, -v70
	v_mul_f32_e32 v84, 0xbe3c28d5, v36
	v_dual_add_f32 v74, v74, v76 :: v_dual_add_f32 v71, v75, v81
	s_delay_alu instid0(VALU_DEP_3) | instskip(SKIP_1) | instid1(VALU_DEP_4)
	v_dual_add_f32 v75, v83, v78 :: v_dual_mul_f32 v78, 0x3f65296c, v80
	v_fmac_f32_e32 v70, 0xbf7ba420, v85
	v_fma_f32 v80, 0xbf7ba420, v37, -v84
	v_sub_f32_e32 v83, v31, v13
	s_delay_alu instid0(VALU_DEP_2) | instskip(SKIP_3) | instid1(VALU_DEP_3)
	v_dual_add_f32 v70, v70, v77 :: v_dual_add_f32 v77, v80, v79
	v_dual_sub_f32 v79, v39, v41 :: v_dual_mul_f32 v36, 0x3f65296c, v36
	v_add_f32_e32 v80, v40, v38
	v_fmamk_f32 v76, v37, 0xbf7ba420, v84
	v_dual_sub_f32 v38, v38, v40 :: v_dual_fmamk_f32 v81, v37, 0x3ee437d1, v36
	v_fma_f32 v36, 0x3ee437d1, v37, -v36
	s_delay_alu instid0(VALU_DEP_3)
	v_add_f32_e32 v72, v76, v72
	v_fma_f32 v76, 0x3ee437d1, v85, -v78
	v_add_f32_e32 v37, v41, v39
	v_mul_f32_e32 v39, 0xbf06c442, v38
	v_add_f32_e32 v36, v36, v42
	v_fmac_f32_e32 v78, 0x3ee437d1, v85
	v_add_f32_e32 v46, v81, v46
	v_sub_f32_e32 v85, v25, v7
	s_delay_alu instid0(VALU_DEP_3) | instskip(SKIP_2) | instid1(VALU_DEP_3)
	v_dual_add_f32 v49, v78, v49 :: v_dual_mul_f32 v40, 0xbf06c442, v79
	v_fmamk_f32 v78, v37, 0xbf59a7d5, v39
	v_fma_f32 v39, 0xbf59a7d5, v37, -v39
	v_fma_f32 v41, 0xbf59a7d5, v80, -v40
	s_delay_alu instid0(VALU_DEP_3) | instskip(SKIP_2) | instid1(VALU_DEP_4)
	v_add_f32_e32 v44, v78, v44
	v_mul_f32_e32 v42, 0x3f65296c, v79
	v_add_f32_e32 v48, v87, v48
	v_dual_fmac_f32 v40, 0xbf59a7d5, v80 :: v_dual_add_f32 v41, v41, v43
	v_mul_f32_e32 v78, 0x3f65296c, v38
	s_delay_alu instid0(VALU_DEP_4) | instskip(NEXT) | instid1(VALU_DEP_3)
	v_fma_f32 v43, 0x3ee437d1, v80, -v42
	v_dual_add_f32 v39, v39, v45 :: v_dual_add_f32 v40, v40, v48
	v_mul_f32_e32 v45, 0xbf7ee86f, v79
	s_delay_alu instid0(VALU_DEP_3) | instskip(SKIP_2) | instid1(VALU_DEP_4)
	v_dual_fmamk_f32 v48, v37, 0x3ee437d1, v78 :: v_dual_add_f32 v43, v43, v51
	v_fma_f32 v51, 0x3ee437d1, v37, -v78
	v_mul_f32_e32 v78, 0xbf7ee86f, v38
	v_fma_f32 v81, 0x3dbcf732, v80, -v45
	s_delay_alu instid0(VALU_DEP_4) | instskip(SKIP_1) | instid1(VALU_DEP_4)
	v_add_f32_e32 v47, v48, v47
	v_fmac_f32_e32 v45, 0x3dbcf732, v80
	v_dual_add_f32 v48, v51, v52 :: v_dual_fmamk_f32 v51, v37, 0x3dbcf732, v78
	s_delay_alu instid0(VALU_DEP_4) | instskip(SKIP_1) | instid1(VALU_DEP_4)
	v_add_f32_e32 v52, v81, v55
	v_fma_f32 v55, 0x3dbcf732, v37, -v78
	v_add_f32_e32 v45, v45, v50
	v_sub_f32_e32 v87, v27, v5
	v_dual_add_f32 v51, v51, v57 :: v_dual_fmac_f32 v42, 0x3ee437d1, v80
	s_delay_alu instid0(VALU_DEP_1) | instskip(SKIP_2) | instid1(VALU_DEP_2)
	v_dual_mul_f32 v57, 0x3f4c4adb, v38 :: v_dual_add_f32 v42, v42, v53
	v_dual_mul_f32 v53, 0x3f4c4adb, v79 :: v_dual_add_f32 v50, v55, v56
	v_mul_f32_e32 v55, 0xbeb8f4ab, v79
	v_fma_f32 v78, 0xbf1a4643, v80, -v53
	s_delay_alu instid0(VALU_DEP_1) | instskip(NEXT) | instid1(VALU_DEP_1)
	v_dual_fmac_f32 v53, 0xbf1a4643, v80 :: v_dual_add_f32 v58, v78, v58
	v_add_f32_e32 v53, v53, v54
	v_fmamk_f32 v56, v37, 0xbf1a4643, v57
	v_fma_f32 v57, 0xbf1a4643, v37, -v57
	v_fma_f32 v78, 0x3f6eb680, v80, -v55
	s_delay_alu instid0(VALU_DEP_3) | instskip(NEXT) | instid1(VALU_DEP_3)
	v_dual_add_f32 v56, v56, v59 :: v_dual_mul_f32 v59, 0xbeb8f4ab, v38
	v_dual_add_f32 v54, v57, v61 :: v_dual_mul_f32 v61, 0xbe3c28d5, v79
	s_delay_alu instid0(VALU_DEP_3) | instskip(NEXT) | instid1(VALU_DEP_3)
	v_dual_add_f32 v57, v78, v67 :: v_dual_mul_f32 v78, 0xbe3c28d5, v38
	v_fmamk_f32 v67, v37, 0x3f6eb680, v59
	v_fma_f32 v59, 0x3f6eb680, v37, -v59
	s_delay_alu instid0(VALU_DEP_4) | instskip(NEXT) | instid1(VALU_DEP_3)
	v_fma_f32 v81, 0xbf7ba420, v80, -v61
	v_dual_fmac_f32 v61, 0xbf7ba420, v80 :: v_dual_add_f32 v66, v67, v66
	s_delay_alu instid0(VALU_DEP_3) | instskip(NEXT) | instid1(VALU_DEP_3)
	v_add_f32_e32 v59, v59, v68
	v_add_f32_e32 v67, v81, v73
	v_fma_f32 v73, 0xbf7ba420, v37, -v78
	s_delay_alu instid0(VALU_DEP_4) | instskip(SKIP_1) | instid1(VALU_DEP_3)
	v_dual_mul_f32 v68, 0x3f2c7751, v79 :: v_dual_add_f32 v61, v61, v69
	v_mul_f32_e32 v81, 0xbf2c7751, v91
	v_add_f32_e32 v69, v73, v71
	v_mul_f32_e32 v71, 0xbf763a35, v79
	v_add_f32_e32 v79, v34, v32
	v_fmac_f32_e32 v55, 0x3f6eb680, v80
	s_delay_alu instid0(VALU_DEP_1) | instskip(SKIP_2) | instid1(VALU_DEP_3)
	v_dual_add_f32 v55, v55, v60 :: v_dual_fmamk_f32 v60, v37, 0xbf7ba420, v78
	v_fma_f32 v78, 0x3f3d2fb0, v80, -v68
	v_fmac_f32_e32 v68, 0x3f3d2fb0, v80
	v_add_f32_e32 v60, v60, v74
	v_mul_f32_e32 v74, 0x3f2c7751, v38
	s_delay_alu instid0(VALU_DEP_4) | instskip(SKIP_2) | instid1(VALU_DEP_4)
	v_dual_add_f32 v76, v76, v82 :: v_dual_add_f32 v75, v78, v75
	v_fma_f32 v78, 0xbe8c1d8e, v80, -v71
	v_fmac_f32_e32 v71, 0xbe8c1d8e, v80
	v_fmamk_f32 v73, v37, 0x3f3d2fb0, v74
	v_fma_f32 v74, 0x3f3d2fb0, v37, -v74
	v_add_f32_e32 v80, v35, v33
	s_delay_alu instid0(VALU_DEP_4) | instskip(NEXT) | instid1(VALU_DEP_4)
	v_dual_mul_f32 v82, 0xbf06c442, v98 :: v_dual_add_f32 v95, v71, v49
	v_add_f32_e32 v72, v73, v72
	v_add_f32_e32 v68, v68, v70
	v_dual_add_f32 v70, v74, v77 :: v_dual_sub_f32 v77, v32, v34
	v_dual_mul_f32 v38, 0xbf763a35, v38 :: v_dual_add_f32 v73, v78, v76
	v_dual_sub_f32 v74, v33, v35 :: v_dual_mul_f32 v71, 0xbf7ee86f, v88
	s_delay_alu instid0(VALU_DEP_3) | instskip(NEXT) | instid1(VALU_DEP_3)
	v_mul_f32_e32 v33, 0xbe3c28d5, v77
	v_fmamk_f32 v76, v37, 0xbe8c1d8e, v38
	v_fma_f32 v32, 0xbe8c1d8e, v37, -v38
	s_delay_alu instid0(VALU_DEP_4) | instskip(NEXT) | instid1(VALU_DEP_3)
	v_dual_mul_f32 v38, 0x3eb8f4ab, v74 :: v_dual_mul_f32 v37, 0x3eb8f4ab, v77
	v_add_f32_e32 v76, v76, v46
	s_delay_alu instid0(VALU_DEP_3) | instskip(SKIP_2) | instid1(VALU_DEP_3)
	v_dual_mul_f32 v34, 0xbe3c28d5, v74 :: v_dual_add_f32 v97, v32, v36
	v_fmamk_f32 v36, v80, 0xbf7ba420, v33
	v_mul_f32_e32 v46, 0x3f2c7751, v74
	v_fma_f32 v35, 0xbf7ba420, v79, -v34
	v_fmac_f32_e32 v34, 0xbf7ba420, v79
	s_delay_alu instid0(VALU_DEP_2)
	v_add_f32_e32 v32, v35, v41
	v_fma_f32 v35, 0xbf7ba420, v80, -v33
	v_add_f32_e32 v33, v36, v44
	v_fma_f32 v36, 0x3f6eb680, v79, -v38
	;; [unrolled: 2-line block ×3, first 2 shown]
	v_add_f32_e32 v35, v35, v39
	v_fmamk_f32 v39, v80, 0x3f6eb680, v37
	v_dual_add_f32 v36, v36, v43 :: v_dual_mul_f32 v43, 0xbf06c442, v77
	v_fmac_f32_e32 v38, 0x3f6eb680, v79
	s_delay_alu instid0(VALU_DEP_3) | instskip(SKIP_4) | instid1(VALU_DEP_2)
	v_add_f32_e32 v37, v39, v47
	v_add_f32_e32 v39, v40, v48
	v_fma_f32 v48, 0x3f3d2fb0, v79, -v46
	v_fmac_f32_e32 v46, 0x3f3d2fb0, v79
	v_dual_mul_f32 v47, 0x3f2c7751, v77 :: v_dual_add_f32 v38, v38, v42
	v_add_f32_e32 v99, v46, v53
	v_mul_f32_e32 v53, 0x3f7ee86f, v77
	v_mul_f32_e32 v44, 0xbf06c442, v74
	;; [unrolled: 1-line block ×5, first 2 shown]
	v_fma_f32 v117, 0x3dbcf732, v80, -v53
	v_fma_f32 v41, 0xbf59a7d5, v79, -v44
	s_delay_alu instid0(VALU_DEP_2) | instskip(NEXT) | instid1(VALU_DEP_2)
	v_dual_fmac_f32 v44, 0xbf59a7d5, v79 :: v_dual_add_f32 v117, v117, v97
	v_dual_add_f32 v40, v41, v52 :: v_dual_fmamk_f32 v41, v80, 0xbf59a7d5, v43
	v_fma_f32 v43, 0xbf59a7d5, v80, -v43
	s_delay_alu instid0(VALU_DEP_3)
	v_add_f32_e32 v42, v44, v45
	v_fmamk_f32 v45, v80, 0x3f3d2fb0, v47
	v_add_f32_e32 v44, v48, v58
	v_fma_f32 v47, 0x3f3d2fb0, v80, -v47
	v_add_f32_e32 v43, v43, v50
	v_fma_f32 v48, 0xbf1a4643, v79, -v49
	v_mul_f32_e32 v50, 0xbf4c4adb, v77
	v_fmac_f32_e32 v49, 0xbf1a4643, v79
	v_dual_add_f32 v41, v41, v51 :: v_dual_add_f32 v100, v47, v54
	s_delay_alu instid0(VALU_DEP_4) | instskip(NEXT) | instid1(VALU_DEP_4)
	v_add_f32_e32 v101, v48, v57
	v_fmamk_f32 v47, v80, 0xbf1a4643, v50
	v_fma_f32 v48, 0xbf1a4643, v80, -v50
	v_fma_f32 v50, 0x3ee437d1, v79, -v46
	v_dual_mul_f32 v51, 0x3f65296c, v77 :: v_dual_add_f32 v104, v49, v55
	v_fmac_f32_e32 v46, 0x3ee437d1, v79
	v_dual_mul_f32 v49, 0xbf763a35, v77 :: v_dual_add_f32 v102, v47, v66
	v_add_f32_e32 v105, v48, v59
	s_delay_alu instid0(VALU_DEP_4) | instskip(SKIP_3) | instid1(VALU_DEP_4)
	v_fmamk_f32 v47, v80, 0x3ee437d1, v51
	v_mul_f32_e32 v48, 0xbf763a35, v74
	v_add_f32_e32 v108, v46, v61
	v_fmamk_f32 v46, v80, 0xbe8c1d8e, v49
	v_dual_add_f32 v106, v50, v67 :: v_dual_add_f32 v107, v47, v60
	s_delay_alu instid0(VALU_DEP_4) | instskip(NEXT) | instid1(VALU_DEP_3)
	v_fma_f32 v47, 0xbe8c1d8e, v79, -v48
	v_dual_fmac_f32 v48, 0xbe8c1d8e, v79 :: v_dual_add_f32 v111, v46, v72
	v_sub_f32_e32 v46, v3, v65
	v_fma_f32 v50, 0x3ee437d1, v80, -v51
	s_delay_alu instid0(VALU_DEP_4)
	v_add_f32_e32 v110, v47, v75
	v_fma_f32 v47, 0xbe8c1d8e, v80, -v49
	v_add_f32_e32 v112, v48, v68
	v_fma_f32 v49, 0x3dbcf732, v79, -v116
	v_add_f32_e32 v48, v64, v2
	v_mul_f32_e32 v68, 0xbeb8f4ab, v46
	v_dual_add_f32 v52, v65, v3 :: v_dual_add_f32 v109, v50, v69
	s_delay_alu instid0(VALU_DEP_4) | instskip(SKIP_1) | instid1(VALU_DEP_4)
	v_add_f32_e32 v114, v49, v73
	v_mul_f32_e32 v69, 0xbf2c7751, v85
	v_fmamk_f32 v49, v48, 0x3f6eb680, v68
	v_add_f32_e32 v113, v47, v70
	v_sub_f32_e32 v47, v2, v64
	v_dual_add_f32 v45, v45, v56 :: v_dual_fmamk_f32 v50, v80, 0x3dbcf732, v53
	s_delay_alu instid0(VALU_DEP_4) | instskip(NEXT) | instid1(VALU_DEP_3)
	v_add_f32_e32 v54, v49, v0
	v_dual_add_f32 v49, v6, v24 :: v_dual_mul_f32 v78, 0xbeb8f4ab, v47
	s_delay_alu instid0(VALU_DEP_3) | instskip(SKIP_1) | instid1(VALU_DEP_3)
	v_dual_mul_f32 v70, 0xbf65296c, v87 :: v_dual_add_f32 v115, v50, v76
	v_add_f32_e32 v50, v7, v25
	v_fmamk_f32 v56, v49, 0x3f3d2fb0, v69
	s_delay_alu instid0(VALU_DEP_4) | instskip(SKIP_3) | instid1(VALU_DEP_4)
	v_fma_f32 v51, 0x3f6eb680, v52, -v78
	v_add_f32_e32 v53, v5, v27
	v_mul_f32_e32 v75, 0xbf65296c, v92
	v_fma_f32 v57, 0x3f3d2fb0, v50, -v81
	v_dual_add_f32 v54, v56, v54 :: v_dual_add_f32 v55, v51, v1
	v_add_f32_e32 v51, v4, v26
	s_delay_alu instid0(VALU_DEP_4) | instskip(SKIP_1) | instid1(VALU_DEP_4)
	v_fma_f32 v59, 0x3ee437d1, v53, -v75
	v_mul_f32_e32 v77, 0xbf7ee86f, v94
	v_dual_mul_f32 v72, 0xbf763a35, v89 :: v_dual_add_f32 v57, v57, v55
	s_delay_alu instid0(VALU_DEP_4) | instskip(SKIP_2) | instid1(VALU_DEP_3)
	v_dual_fmamk_f32 v56, v51, 0x3ee437d1, v70 :: v_dual_add_f32 v55, v8, v18
	v_fmac_f32_e32 v116, 0x3dbcf732, v79
	v_mul_f32_e32 v79, 0xbf763a35, v93
	v_dual_add_f32 v59, v59, v57 :: v_dual_add_f32 v58, v56, v54
	v_add_f32_e32 v54, v10, v16
	v_dual_add_f32 v56, v11, v17 :: v_dual_add_f32 v57, v9, v19
	v_dual_mul_f32 v73, 0xbf4c4adb, v90 :: v_dual_mul_f32 v80, 0xbf4c4adb, v96
	s_delay_alu instid0(VALU_DEP_3) | instskip(NEXT) | instid1(VALU_DEP_3)
	v_fmamk_f32 v60, v54, 0x3dbcf732, v71
	v_fma_f32 v61, 0x3dbcf732, v56, -v77
	v_mul_f32_e32 v74, 0xbf06c442, v83
	v_add_f32_e32 v116, v116, v95
	s_delay_alu instid0(VALU_DEP_4) | instskip(NEXT) | instid1(VALU_DEP_4)
	v_add_f32_e32 v58, v60, v58
	v_dual_fmamk_f32 v60, v55, 0xbe8c1d8e, v72 :: v_dual_add_f32 v61, v61, v59
	s_delay_alu instid0(VALU_DEP_1) | instskip(SKIP_2) | instid1(VALU_DEP_3)
	v_dual_add_f32 v59, v15, v29 :: v_dual_add_f32 v66, v60, v58
	v_fma_f32 v60, 0xbe8c1d8e, v57, -v79
	v_add_f32_e32 v58, v14, v28
	v_fma_f32 v84, 0xbf1a4643, v59, -v80
	s_delay_alu instid0(VALU_DEP_2) | instskip(SKIP_1) | instid1(VALU_DEP_2)
	v_dual_add_f32 v67, v60, v61 :: v_dual_fmamk_f32 v76, v58, 0xbf1a4643, v73
	v_dual_add_f32 v60, v12, v30 :: v_dual_add_f32 v61, v13, v31
	v_add_f32_e32 v119, v84, v67
	s_delay_alu instid0(VALU_DEP_3) | instskip(NEXT) | instid1(VALU_DEP_3)
	v_add_f32_e32 v118, v76, v66
	v_fmamk_f32 v120, v60, 0xbf59a7d5, v74
	s_delay_alu instid0(VALU_DEP_4) | instskip(SKIP_3) | instid1(VALU_DEP_4)
	v_fma_f32 v121, 0xbf59a7d5, v61, -v82
	v_dual_add_f32 v66, v22, v20 :: v_dual_add_f32 v67, v23, v21
	v_mul_f32_e32 v76, 0xbe3c28d5, v86
	v_mul_f32_e32 v84, 0xbe3c28d5, v103
	v_dual_add_f32 v118, v120, v118 :: v_dual_add_f32 v119, v121, v119
	v_and_b32_e32 v121, 0xffff, v122
	s_delay_alu instid0(VALU_DEP_4) | instskip(NEXT) | instid1(VALU_DEP_4)
	v_fmamk_f32 v120, v66, 0xbf7ba420, v76
	v_fma_f32 v122, 0xbf7ba420, v67, -v84
	s_delay_alu instid0(VALU_DEP_2) | instskip(NEXT) | instid1(VALU_DEP_2)
	v_dual_add_f32 v242, v120, v118 :: v_dual_lshlrev_b32 v251, 3, v121
	v_add_f32_e32 v243, v122, v119
	ds_store_2addr_b64 v251, v[62:63], v[32:33] offset1:1
	ds_store_2addr_b64 v251, v[36:37], v[40:41] offset0:2 offset1:3
	ds_store_2addr_b64 v251, v[44:45], v[101:102] offset0:4 offset1:5
	;; [unrolled: 1-line block ×7, first 2 shown]
	ds_store_b64 v251, v[34:35] offset:128
	s_and_saveexec_b32 s0, vcc_lo
	s_cbranch_execz .LBB0_7
; %bb.6:
	v_mul_f32_e32 v40, 0xbf06c442, v46
	v_mul_f32_e32 v121, 0x3f2c7751, v83
	v_dual_mul_f32 v34, 0xbf59a7d5, v52 :: v_dual_mul_f32 v105, 0xbf59a7d5, v61
	v_mul_f32_e32 v45, 0xbf7ee86f, v87
	s_delay_alu instid0(VALU_DEP_4) | instskip(NEXT) | instid1(VALU_DEP_4)
	v_fmamk_f32 v35, v48, 0xbf59a7d5, v40
	v_fmamk_f32 v123, v60, 0x3f3d2fb0, v121
	v_mul_f32_e32 v42, 0x3f65296c, v85
	v_mul_f32_e32 v36, 0x3ee437d1, v50
	v_mul_f32_e32 v107, 0x3dbcf732, v56
	v_add_f32_e32 v35, v35, v0
	v_dual_mul_f32 v109, 0xbf7ba420, v67 :: v_dual_mul_f32 v114, 0xbf7ba420, v52
	v_fmamk_f32 v44, v49, 0x3ee437d1, v42
	v_dual_mul_f32 v110, 0x3f6eb680, v52 :: v_dual_mul_f32 v117, 0x3f6eb680, v50
	v_dual_mul_f32 v38, 0xbf1a4643, v56 :: v_dual_mul_f32 v63, 0xbf1a4643, v58
	s_delay_alu instid0(VALU_DEP_3)
	v_dual_add_f32 v35, v44, v35 :: v_dual_fmamk_f32 v44, v51, 0x3dbcf732, v45
	v_fmamk_f32 v32, v47, 0x3f06c442, v34
	v_mul_f32_e32 v111, 0x3f3d2fb0, v50
	v_fmamk_f32 v116, v47, 0x3e3c28d5, v114
	v_fmamk_f32 v33, v91, 0xbf65296c, v36
	v_dual_mul_f32 v95, 0xbf59a7d5, v60 :: v_dual_mul_f32 v120, 0xbf59a7d5, v53
	v_add_f32_e32 v32, v32, v1
	s_delay_alu instid0(VALU_DEP_4) | instskip(SKIP_4) | instid1(VALU_DEP_3)
	v_add_f32_e32 v116, v116, v1
	v_mul_f32_e32 v99, 0x3f3d2fb0, v49
	v_fmamk_f32 v119, v91, 0xbeb8f4ab, v117
	v_dual_mul_f32 v102, 0x3f6eb680, v48 :: v_dual_mul_f32 v39, 0x3f6eb680, v57
	v_dual_add_f32 v32, v33, v32 :: v_dual_mul_f32 v37, 0x3dbcf732, v53
	v_dual_add_f32 v116, v119, v116 :: v_dual_fmamk_f32 v119, v92, 0x3f06c442, v120
	v_dual_mul_f32 v43, 0x3f3d2fb0, v61 :: v_dual_mul_f32 v122, 0x3f3d2fb0, v56
	s_delay_alu instid0(VALU_DEP_3) | instskip(SKIP_3) | instid1(VALU_DEP_4)
	v_fmamk_f32 v33, v92, 0x3f7ee86f, v37
	v_mul_f32_e32 v112, 0x3f4c4adb, v88
	v_mul_f32_e32 v127, 0x3eb8f4ab, v85
	v_dual_mul_f32 v108, 0xbe8c1d8e, v57 :: v_dual_mul_f32 v113, 0xbe8c1d8e, v67
	v_dual_add_f32 v32, v33, v32 :: v_dual_fmamk_f32 v33, v94, 0xbf4c4adb, v38
	v_mul_f32_e32 v97, 0x3dbcf732, v54
	v_mul_f32_e32 v104, 0xbf1a4643, v59
	;; [unrolled: 1-line block ×3, first 2 shown]
	v_fmac_f32_e32 v114, 0xbe3c28d5, v47
	v_add_f32_e32 v32, v33, v32
	v_fmamk_f32 v33, v93, 0x3eb8f4ab, v39
	v_mul_f32_e32 v41, 0xbf7ba420, v59
	v_fmac_f32_e32 v36, 0x3f65296c, v91
	v_fmamk_f32 v129, v49, 0x3f6eb680, v127
	v_dual_fmamk_f32 v115, v103, 0x3f763a35, v113 :: v_dual_add_f32 v114, v114, v1
	s_delay_alu instid0(VALU_DEP_4) | instskip(SKIP_3) | instid1(VALU_DEP_4)
	v_dual_add_f32 v32, v33, v32 :: v_dual_fmamk_f32 v33, v96, 0x3e3c28d5, v41
	v_mul_f32_e32 v101, 0xbf7ba420, v66
	v_fmamk_f32 v131, v98, 0x3f763a35, v128
	v_mul_f32_e32 v118, 0xbe3c28d5, v90
	v_dual_fmac_f32 v39, 0xbeb8f4ab, v93 :: v_dual_add_f32 v32, v33, v32
	v_fmamk_f32 v33, v98, 0xbf2c7751, v43
	v_fmac_f32_e32 v117, 0x3eb8f4ab, v91
	v_fmac_f32_e32 v120, 0xbf06c442, v92
	;; [unrolled: 1-line block ×4, first 2 shown]
	v_dual_add_f32 v32, v33, v32 :: v_dual_add_f32 v33, v44, v35
	v_fmamk_f32 v35, v54, 0xbf1a4643, v112
	v_mul_f32_e32 v44, 0xbeb8f4ab, v89
	v_mul_f32_e32 v100, 0x3ee437d1, v51
	v_add_f32_e32 v114, v117, v114
	v_mul_f32_e32 v106, 0x3ee437d1, v53
	v_add_f32_e32 v33, v35, v33
	v_fmamk_f32 v35, v55, 0x3f6eb680, v44
	v_mul_f32_e32 v62, 0xbe8c1d8e, v55
	v_add_f32_e32 v114, v120, v114
	v_mul_f32_e32 v130, 0xbf06c442, v87
	s_delay_alu instid0(VALU_DEP_4)
	v_dual_mul_f32 v124, 0x3ee437d1, v59 :: v_dual_add_f32 v33, v35, v33
	v_fmamk_f32 v35, v58, 0xbf7ba420, v118
	v_fmac_f32_e32 v37, 0xbf7ee86f, v92
	v_fmac_f32_e32 v38, 0x3f4c4adb, v94
	v_mul_f32_e32 v134, 0x3f65296c, v90
	v_fmac_f32_e32 v43, 0x3f2c7751, v98
	v_add_f32_e32 v35, v35, v33
	v_add_f32_e32 v33, v115, v32
	v_fma_f32 v40, 0xbf59a7d5, v48, -v40
	v_fmac_f32_e32 v113, 0xbf763a35, v103
	s_delay_alu instid0(VALU_DEP_4) | instskip(SKIP_3) | instid1(VALU_DEP_4)
	v_dual_mul_f32 v140, 0xbe3c28d5, v89 :: v_dual_add_f32 v35, v123, v35
	v_mul_f32_e32 v123, 0xbe3c28d5, v46
	v_mul_f32_e32 v148, 0x3eb8f4ab, v94
	;; [unrolled: 1-line block ×3, first 2 shown]
	v_fma_f32 v142, 0xbf7ba420, v55, -v140
	v_mul_f32_e32 v146, 0x3f763a35, v92
	v_fmamk_f32 v126, v48, 0xbf7ba420, v123
	v_fma_f32 v123, 0xbf7ba420, v48, -v123
	v_mul_f32_e32 v164, 0x3e3c28d5, v92
	v_mul_f32_e32 v157, 0x3f2c7751, v103
	;; [unrolled: 1-line block ×3, first 2 shown]
	v_add_f32_e32 v126, v126, v0
	v_add_f32_e32 v120, v123, v0
	v_fma_f32 v123, 0x3f6eb680, v49, -v127
	v_fmamk_f32 v115, v94, 0xbf2c7751, v122
	v_fmac_f32_e32 v122, 0x3f2c7751, v94
	v_fma_f32 v45, 0x3dbcf732, v51, -v45
	s_delay_alu instid0(VALU_DEP_4) | instskip(SKIP_1) | instid1(VALU_DEP_4)
	v_dual_mul_f32 v127, 0x3f65296c, v103 :: v_dual_add_f32 v120, v123, v120
	v_add_f32_e32 v123, v34, v1
	v_add_f32_e32 v114, v122, v114
	;; [unrolled: 1-line block ×3, first 2 shown]
	v_mul_f32_e32 v116, 0xbf1a4643, v57
	v_fma_f32 v122, 0xbf59a7d5, v51, -v130
	v_dual_add_f32 v36, v36, v123 :: v_dual_mul_f32 v123, 0xbeb8f4ab, v92
	s_delay_alu instid0(VALU_DEP_3) | instskip(NEXT) | instid1(VALU_DEP_3)
	v_dual_add_f32 v32, v115, v32 :: v_dual_fmamk_f32 v115, v93, 0x3f4c4adb, v116
	v_dual_add_f32 v120, v122, v120 :: v_dual_mul_f32 v119, 0xbf763a35, v86
	s_delay_alu instid0(VALU_DEP_3) | instskip(SKIP_1) | instid1(VALU_DEP_4)
	v_add_f32_e32 v36, v37, v36
	v_add_f32_e32 v37, v40, v0
	v_dual_add_f32 v32, v115, v32 :: v_dual_fmamk_f32 v115, v96, 0xbf65296c, v124
	s_delay_alu instid0(VALU_DEP_4) | instskip(NEXT) | instid1(VALU_DEP_4)
	v_fmamk_f32 v125, v66, 0xbe8c1d8e, v119
	v_add_f32_e32 v36, v38, v36
	v_fma_f32 v40, 0x3ee437d1, v49, -v42
	v_mul_f32_e32 v138, 0xbf65296c, v88
	s_delay_alu instid0(VALU_DEP_4) | instskip(SKIP_2) | instid1(VALU_DEP_3)
	v_dual_add_f32 v115, v115, v32 :: v_dual_add_f32 v32, v125, v35
	v_add_f32_e32 v35, v129, v126
	v_fmamk_f32 v125, v51, 0xbf59a7d5, v130
	v_dual_mul_f32 v126, 0x3f2c7751, v88 :: v_dual_add_f32 v115, v131, v115
	v_mul_f32_e32 v131, 0xbf4c4adb, v89
	v_mul_f32_e32 v129, 0x3dbcf732, v67
	s_delay_alu instid0(VALU_DEP_4) | instskip(NEXT) | instid1(VALU_DEP_4)
	v_add_f32_e32 v35, v125, v35
	v_dual_fmamk_f32 v125, v54, 0x3f3d2fb0, v126 :: v_dual_add_f32 v40, v40, v37
	v_add_f32_e32 v36, v39, v36
	v_fmamk_f32 v133, v55, 0xbf1a4643, v131
	v_fma_f32 v122, 0x3f3d2fb0, v54, -v126
	s_delay_alu instid0(VALU_DEP_4) | instskip(NEXT) | instid1(VALU_DEP_4)
	v_dual_add_f32 v125, v125, v35 :: v_dual_mul_f32 v126, 0xbe3c28d5, v98
	v_add_f32_e32 v41, v41, v36
	v_fmamk_f32 v117, v58, 0x3ee437d1, v134
	v_fmamk_f32 v132, v103, 0xbf7ee86f, v129
	v_dual_fmac_f32 v116, 0xbf4c4adb, v93 :: v_dual_add_f32 v39, v45, v40
	v_fma_f32 v40, 0xbf1a4643, v54, -v112
	s_delay_alu instid0(VALU_DEP_3) | instskip(SKIP_2) | instid1(VALU_DEP_4)
	v_dual_add_f32 v120, v122, v120 :: v_dual_add_f32 v35, v132, v115
	v_add_f32_e32 v115, v133, v125
	v_dual_mul_f32 v125, 0xbf763a35, v83 :: v_dual_fmac_f32 v128, 0xbf763a35, v98
	v_dual_fmac_f32 v124, 0x3f65296c, v96 :: v_dual_add_f32 v39, v40, v39
	s_delay_alu instid0(VALU_DEP_3) | instskip(NEXT) | instid1(VALU_DEP_3)
	v_add_f32_e32 v115, v117, v115
	v_fmamk_f32 v117, v60, 0xbe8c1d8e, v125
	v_fma_f32 v40, 0x3f6eb680, v55, -v44
	v_add_f32_e32 v114, v116, v114
	v_fma_f32 v122, 0xbf1a4643, v55, -v131
	v_fma_f32 v38, 0xbe8c1d8e, v60, -v125
	v_add_f32_e32 v115, v117, v115
	v_add_f32_e32 v39, v40, v39
	v_fma_f32 v40, 0xbf7ba420, v58, -v118
	v_mul_f32_e32 v117, 0x3f7ee86f, v86
	v_add_f32_e32 v114, v124, v114
	v_mul_f32_e32 v112, 0xbeb8f4ab, v87
	v_dual_mul_f32 v124, 0x3f7ee86f, v93 :: v_dual_mul_f32 v135, 0x3f7ee86f, v96
	v_add_f32_e32 v40, v40, v39
	v_fmamk_f32 v116, v66, 0x3dbcf732, v117
	v_add_f32_e32 v114, v128, v114
	v_mul_f32_e32 v130, 0x3f2c7751, v92
	v_mul_f32_e32 v92, 0xbf4c4adb, v92
	v_fma_f32 v171, 0xbf1a4643, v49, -v169
	v_dual_add_f32 v34, v116, v115 :: v_dual_add_f32 v115, v122, v120
	v_fma_f32 v116, 0x3ee437d1, v58, -v134
	v_mul_f32_e32 v122, 0x3f763a35, v91
	v_fmamk_f32 v150, v56, 0x3f6eb680, v148
	v_mul_f32_e32 v118, 0x3f763a35, v85
	v_mul_f32_e32 v134, 0x3f06c442, v85
	v_dual_add_f32 v42, v116, v115 :: v_dual_mul_f32 v115, 0xbf2c7751, v90
	v_dual_mul_f32 v116, 0xbe3c28d5, v83 :: v_dual_mul_f32 v133, 0xbe3c28d5, v93
	s_delay_alu instid0(VALU_DEP_3) | instskip(NEXT) | instid1(VALU_DEP_3)
	v_fma_f32 v45, 0xbf59a7d5, v49, -v134
	v_add_f32_e32 v38, v38, v42
	v_fma_f32 v42, 0x3dbcf732, v66, -v117
	v_mul_f32_e32 v117, 0x3f65296c, v86
	v_mul_f32_e32 v131, 0xbf65296c, v94
	;; [unrolled: 1-line block ×4, first 2 shown]
	v_add_f32_e32 v36, v42, v38
	v_add_f32_e32 v38, v43, v41
	v_mul_f32_e32 v120, 0xbf4c4adb, v47
	v_fma_f32 v43, 0x3f3d2fb0, v60, -v121
	v_mul_f32_e32 v121, 0xbf06c442, v94
	v_fmac_f32_e32 v129, 0x3f7ee86f, v103
	v_add_f32_e32 v39, v113, v38
	s_delay_alu instid0(VALU_DEP_4) | instskip(NEXT) | instid1(VALU_DEP_4)
	v_dual_fmamk_f32 v41, v52, 0xbf1a4643, v120 :: v_dual_add_f32 v40, v43, v40
	v_fmamk_f32 v43, v56, 0xbf59a7d5, v121
	s_delay_alu instid0(VALU_DEP_4) | instskip(NEXT) | instid1(VALU_DEP_3)
	v_dual_fmamk_f32 v42, v50, 0xbe8c1d8e, v122 :: v_dual_add_f32 v37, v129, v114
	v_add_f32_e32 v41, v41, v1
	v_mul_f32_e32 v129, 0x3f06c442, v91
	v_mul_f32_e32 v114, 0x3f7ee86f, v89
	;; [unrolled: 1-line block ×3, first 2 shown]
	s_delay_alu instid0(VALU_DEP_4)
	v_dual_mul_f32 v161, 0xbf4c4adb, v91 :: v_dual_add_f32 v38, v42, v41
	v_fmamk_f32 v41, v53, 0x3f6eb680, v123
	v_fma_f32 v42, 0xbe8c1d8e, v66, -v119
	v_fmamk_f32 v44, v50, 0xbf59a7d5, v129
	v_mul_f32_e32 v125, 0xbf2c7751, v96
	v_fmamk_f32 v163, v50, 0xbf1a4643, v161
	s_delay_alu instid0(VALU_DEP_4) | instskip(SKIP_2) | instid1(VALU_DEP_3)
	v_dual_add_f32 v41, v41, v38 :: v_dual_add_f32 v38, v42, v40
	v_fmamk_f32 v42, v57, 0x3dbcf732, v124
	v_dual_mul_f32 v152, 0xbe3c28d5, v85 :: v_dual_add_f32 v81, v81, v111
	v_add_f32_e32 v41, v43, v41
	v_fma_f32 v43, 0xbe8c1d8e, v49, -v118
	v_mul_f32_e32 v139, 0xbf4c4adb, v103
	v_fmamk_f32 v145, v50, 0xbf7ba420, v144
	v_fma_f32 v153, 0xbf7ba420, v49, -v152
	v_dual_add_f32 v41, v42, v41 :: v_dual_fmamk_f32 v42, v59, 0x3f3d2fb0, v125
	v_mul_f32_e32 v141, 0xbf7ee86f, v47
	v_mul_f32_e32 v154, 0x3f763a35, v87
	v_mul_f32_e32 v156, 0x3eb8f4ab, v88
	v_dual_mul_f32 v158, 0xbf65296c, v89 :: v_dual_mul_f32 v167, 0xbf65296c, v46
	v_dual_add_f32 v41, v42, v41 :: v_dual_fmamk_f32 v42, v61, 0xbf7ba420, v126
	v_dual_mul_f32 v160, 0xbf06c442, v90 :: v_dual_mul_f32 v175, 0xbf06c442, v103
	v_mul_f32_e32 v151, 0xbf65296c, v93
	s_delay_alu instid0(VALU_DEP_3)
	v_dual_mul_f32 v162, 0x3f4c4adb, v83 :: v_dual_add_f32 v41, v42, v41
	v_fmamk_f32 v42, v67, 0x3ee437d1, v127
	v_mul_f32_e32 v128, 0xbf763a35, v47
	v_mul_f32_e32 v170, 0xbeb8f4ab, v96
	;; [unrolled: 1-line block ×4, first 2 shown]
	s_delay_alu instid0(VALU_DEP_4) | instskip(SKIP_2) | instid1(VALU_DEP_4)
	v_dual_add_f32 v41, v42, v41 :: v_dual_fmamk_f32 v42, v52, 0xbe8c1d8e, v128
	v_mul_f32_e32 v119, 0xbf4c4adb, v46
	v_dual_mul_f32 v176, 0x3f2c7751, v89 :: v_dual_add_f32 v75, v75, v106
	v_fmamk_f32 v179, v50, 0x3dbcf732, v91
	s_delay_alu instid0(VALU_DEP_4) | instskip(NEXT) | instid1(VALU_DEP_4)
	v_add_f32_e32 v42, v42, v1
	v_fma_f32 v40, 0xbf1a4643, v48, -v119
	v_dual_mul_f32 v174, 0x3f763a35, v88 :: v_dual_add_f32 v111, v3, v1
	v_mul_f32_e32 v168, 0x3f2c7751, v93
	s_delay_alu instid0(VALU_DEP_4) | instskip(NEXT) | instid1(VALU_DEP_4)
	v_add_f32_e32 v42, v44, v42
	v_add_f32_e32 v40, v40, v0
	v_fmamk_f32 v44, v53, 0x3f3d2fb0, v130
	v_mul_f32_e32 v113, 0xbf06c442, v88
	v_add_f32_e32 v25, v25, v111
	s_delay_alu instid0(VALU_DEP_4)
	v_dual_mul_f32 v173, 0xbf7ee86f, v98 :: v_dual_add_f32 v40, v43, v40
	v_fma_f32 v43, 0x3f6eb680, v51, -v112
	v_add_f32_e32 v42, v44, v42
	v_fmamk_f32 v44, v56, 0x3ee437d1, v131
	v_mul_f32_e32 v103, 0x3eb8f4ab, v103
	v_mul_f32_e32 v178, 0xbeb8f4ab, v90
	v_add_f32_e32 v40, v43, v40
	v_fma_f32 v43, 0xbf59a7d5, v54, -v113
	v_add_f32_e32 v42, v44, v42
	v_dual_fmamk_f32 v44, v57, 0xbf7ba420, v133 :: v_dual_add_f32 v25, v27, v25
	s_delay_alu instid0(VALU_DEP_3) | instskip(SKIP_1) | instid1(VALU_DEP_3)
	v_dual_mul_f32 v181, 0xbf2c7751, v46 :: v_dual_add_f32 v40, v43, v40
	v_fma_f32 v43, 0x3dbcf732, v55, -v114
	v_add_f32_e32 v42, v44, v42
	s_delay_alu instid0(VALU_DEP_4) | instskip(NEXT) | instid1(VALU_DEP_3)
	v_dual_fmamk_f32 v44, v59, 0x3dbcf732, v135 :: v_dual_add_f32 v17, v17, v25
	v_dual_mul_f32 v25, 0x3eb8f4ab, v86 :: v_dual_add_f32 v40, v43, v40
	v_fma_f32 v43, 0x3f3d2fb0, v58, -v115
	s_delay_alu instid0(VALU_DEP_3)
	v_add_f32_e32 v42, v44, v42
	v_fmamk_f32 v44, v61, 0x3f6eb680, v137
	v_mul_f32_e32 v85, 0xbf7ee86f, v85
	v_add_f32_e32 v17, v19, v17
	v_add_f32_e32 v40, v43, v40
	v_fma_f32 v43, 0xbf7ba420, v60, -v116
	v_add_f32_e32 v42, v44, v42
	v_fmamk_f32 v44, v67, 0xbf1a4643, v139
	v_fma_f32 v19, 0x3f6eb680, v66, -v25
	s_delay_alu instid0(VALU_DEP_4)
	v_dual_mul_f32 v93, 0x3f06c442, v93 :: v_dual_add_f32 v40, v43, v40
	v_fma_f32 v43, 0x3ee437d1, v66, -v117
	v_mul_f32_e32 v87, 0xbf4c4adb, v87
	v_add_f32_e32 v17, v29, v17
	v_mul_f32_e32 v155, 0x3f4c4adb, v98
	v_fmac_f32_e32 v119, 0xbf1a4643, v48
	v_add_f32_e32 v40, v43, v40
	v_fma_f32 v43, 0xbe8c1d8e, v48, -v132
	v_add_f32_e32 v17, v31, v17
	v_mul_f32_e32 v159, 0xbf65296c, v47
	v_fmac_f32_e32 v115, 0x3f3d2fb0, v58
	s_delay_alu instid0(VALU_DEP_4) | instskip(NEXT) | instid1(VALU_DEP_4)
	v_dual_fmac_f32 v152, 0xbf7ba420, v49 :: v_dual_add_f32 v43, v43, v0
	v_add_f32_e32 v17, v21, v17
	v_dual_sub_f32 v21, v99, v69 :: v_dual_add_f32 v78, v78, v110
	v_dual_fmamk_f32 v110, v67, 0x3f6eb680, v103 :: v_dual_add_f32 v27, v77, v107
	s_delay_alu instid0(VALU_DEP_4)
	v_add_f32_e32 v43, v45, v43
	v_fma_f32 v45, 0x3f3d2fb0, v51, -v136
	v_add_f32_e32 v17, v23, v17
	v_add_f32_e32 v78, v78, v1
	;; [unrolled: 1-line block ×3, first 2 shown]
	v_fmac_f32_e32 v112, 0x3f6eb680, v51
	v_add_f32_e32 v43, v45, v43
	v_fma_f32 v45, 0x3ee437d1, v54, -v138
	v_dual_add_f32 v78, v81, v78 :: v_dual_mul_f32 v177, 0xbf2c7751, v47
	v_dual_add_f32 v2, v24, v2 :: v_dual_add_f32 v13, v13, v17
	s_delay_alu instid0(VALU_DEP_3)
	v_add_f32_e32 v45, v45, v43
	v_add_f32_e32 v43, v44, v42
	v_fmamk_f32 v42, v52, 0x3dbcf732, v141
	v_add_f32_e32 v24, v75, v78
	v_add_f32_e32 v2, v26, v2
	v_dual_add_f32 v44, v142, v45 :: v_dual_mul_f32 v143, 0x3f7ee86f, v90
	v_mul_f32_e32 v142, 0xbeb8f4ab, v83
	v_add_f32_e32 v42, v42, v1
	v_add_f32_e32 v24, v27, v24
	;; [unrolled: 1-line block ×3, first 2 shown]
	v_fma_f32 v45, 0x3dbcf732, v58, -v143
	v_add_f32_e32 v2, v16, v2
	v_add_f32_e32 v42, v145, v42
	s_delay_alu instid0(VALU_DEP_4) | instskip(NEXT) | instid1(VALU_DEP_4)
	v_dual_fmamk_f32 v145, v53, 0xbe8c1d8e, v146 :: v_dual_add_f32 v24, v26, v24
	v_add_f32_e32 v44, v45, v44
	v_fma_f32 v45, 0x3f6eb680, v60, -v142
	v_mul_f32_e32 v147, 0xbf4c4adb, v86
	s_delay_alu instid0(VALU_DEP_4)
	v_add_f32_e32 v145, v145, v42
	v_add_f32_e32 v18, v18, v2
	;; [unrolled: 1-line block ×4, first 2 shown]
	v_fma_f32 v45, 0xbf1a4643, v66, -v147
	v_mul_f32_e32 v149, 0xbf7ee86f, v46
	v_add_f32_e32 v18, v28, v18
	v_dual_mul_f32 v90, 0x3f763a35, v90 :: v_dual_add_f32 v13, v15, v13
	s_delay_alu instid0(VALU_DEP_4) | instskip(NEXT) | instid1(VALU_DEP_4)
	v_add_f32_e32 v42, v45, v44
	v_fma_f32 v44, 0x3dbcf732, v48, -v149
	s_delay_alu instid0(VALU_DEP_4) | instskip(SKIP_1) | instid1(VALU_DEP_3)
	v_dual_add_f32 v18, v30, v18 :: v_dual_mul_f32 v89, 0x3f06c442, v89
	v_fmac_f32_e32 v147, 0xbf1a4643, v66
	v_dual_fmac_f32 v143, 0x3dbcf732, v58 :: v_dual_add_f32 v44, v44, v0
	s_delay_alu instid0(VALU_DEP_3) | instskip(SKIP_2) | instid1(VALU_DEP_4)
	v_dual_add_f32 v18, v20, v18 :: v_dual_add_f32 v9, v9, v13
	v_fmac_f32_e32 v114, 0x3dbcf732, v55
	v_fmac_f32_e32 v138, 0x3ee437d1, v54
	v_add_f32_e32 v44, v153, v44
	v_fma_f32 v153, 0xbe8c1d8e, v51, -v154
	v_fmac_f32_e32 v116, 0xbf7ba420, v60
	v_fmac_f32_e32 v118, 0xbe8c1d8e, v49
	s_delay_alu instid0(VALU_DEP_3) | instskip(SKIP_1) | instid1(VALU_DEP_1)
	v_dual_fmac_f32 v169, 0xbf1a4643, v49 :: v_dual_add_f32 v44, v153, v44
	v_fma_f32 v153, 0x3f6eb680, v54, -v156
	v_add_f32_e32 v44, v153, v44
	v_fma_f32 v153, 0x3ee437d1, v55, -v158
	v_fmac_f32_e32 v158, 0x3ee437d1, v55
	s_delay_alu instid0(VALU_DEP_2) | instskip(SKIP_1) | instid1(VALU_DEP_1)
	v_add_f32_e32 v44, v153, v44
	v_fma_f32 v153, 0xbf59a7d5, v58, -v160
	v_add_f32_e32 v44, v153, v44
	v_fma_f32 v153, 0xbf1a4643, v60, -v162
	s_delay_alu instid0(VALU_DEP_1) | instskip(NEXT) | instid1(VALU_DEP_1)
	v_dual_mul_f32 v165, 0x3f2c7751, v86 :: v_dual_add_f32 v44, v153, v44
	v_fma_f32 v153, 0x3f3d2fb0, v66, -v165
	s_delay_alu instid0(VALU_DEP_1) | instskip(SKIP_2) | instid1(VALU_DEP_2)
	v_dual_fmac_f32 v165, 0x3f3d2fb0, v66 :: v_dual_add_f32 v44, v153, v44
	v_fma_f32 v153, 0x3ee437d1, v48, -v167
	v_fmac_f32_e32 v167, 0x3ee437d1, v48
	v_dual_add_f32 v153, v153, v0 :: v_dual_fmac_f32 v134, 0xbf59a7d5, v49
	s_delay_alu instid0(VALU_DEP_1) | instskip(SKIP_4) | instid1(VALU_DEP_3)
	v_add_f32_e32 v153, v171, v153
	v_add_f32_e32 v45, v150, v145
	v_fmamk_f32 v145, v57, 0x3ee437d1, v151
	v_mul_f32_e32 v150, 0xbf06c442, v96
	v_fma_f32 v171, 0xbf7ba420, v51, -v172
	v_add_f32_e32 v45, v145, v45
	s_delay_alu instid0(VALU_DEP_3) | instskip(NEXT) | instid1(VALU_DEP_3)
	v_fmamk_f32 v145, v59, 0xbf59a7d5, v150
	v_add_f32_e32 v153, v171, v153
	v_fma_f32 v171, 0xbe8c1d8e, v54, -v174
	v_dual_add_f32 v17, v22, v18 :: v_dual_fmac_f32 v132, 0xbe8c1d8e, v48
	s_delay_alu instid0(VALU_DEP_4) | instskip(SKIP_1) | instid1(VALU_DEP_4)
	v_add_f32_e32 v45, v145, v45
	v_fmamk_f32 v145, v61, 0xbf1a4643, v155
	v_add_f32_e32 v153, v171, v153
	v_fma_f32 v171, 0x3f3d2fb0, v55, -v176
	v_mul_f32_e32 v166, 0x3f763a35, v94
	v_add_f32_e32 v12, v12, v17
	v_add_f32_e32 v45, v145, v45
	v_fmamk_f32 v145, v67, 0x3f3d2fb0, v157
	v_add_f32_e32 v153, v171, v153
	v_mul_f32_e32 v171, 0xbf7ee86f, v83
	v_dual_mul_f32 v83, 0x3f65296c, v83 :: v_dual_add_f32 v12, v14, v12
	s_delay_alu instid0(VALU_DEP_4) | instskip(SKIP_2) | instid1(VALU_DEP_4)
	v_add_f32_e32 v45, v145, v45
	v_fmamk_f32 v145, v52, 0x3ee437d1, v159
	v_fma_f32 v18, 0xbf1a4643, v52, -v120
	v_fma_f32 v75, 0x3ee437d1, v60, -v83
	v_add_f32_e32 v8, v8, v12
	v_fma_f32 v17, 0xbe8c1d8e, v50, -v122
	v_add_f32_e32 v145, v145, v1
	v_add_f32_e32 v15, v18, v1
	v_fma_f32 v14, 0x3f6eb680, v53, -v123
	v_dual_add_f32 v8, v10, v8 :: v_dual_add_f32 v9, v11, v9
	s_delay_alu instid0(VALU_DEP_4) | instskip(NEXT) | instid1(VALU_DEP_2)
	v_dual_fmac_f32 v136, 0x3f3d2fb0, v51 :: v_dual_add_f32 v145, v163, v145
	v_dual_fmamk_f32 v163, v53, 0xbf7ba420, v164 :: v_dual_add_f32 v4, v4, v8
	v_add_f32_e32 v13, v17, v15
	v_fma_f32 v12, 0xbf59a7d5, v56, -v121
	v_add_f32_e32 v5, v5, v9
	s_delay_alu instid0(VALU_DEP_4) | instskip(SKIP_4) | instid1(VALU_DEP_4)
	v_add_f32_e32 v145, v163, v145
	v_dual_fmamk_f32 v163, v56, 0xbe8c1d8e, v166 :: v_dual_add_f32 v4, v6, v4
	v_add_f32_e32 v11, v14, v13
	v_fma_f32 v10, 0x3dbcf732, v57, -v124
	v_add_f32_e32 v5, v7, v5
	v_add_f32_e32 v145, v163, v145
	v_dual_fmamk_f32 v163, v57, 0x3f3d2fb0, v168 :: v_dual_add_f32 v4, v64, v4
	v_add_f32_e32 v9, v12, v11
	v_fma_f32 v8, 0x3f3d2fb0, v59, -v125
	v_sub_f32_e32 v14, v95, v74
	s_delay_alu instid0(VALU_DEP_4) | instskip(SKIP_4) | instid1(VALU_DEP_4)
	v_add_f32_e32 v145, v163, v145
	v_fmamk_f32 v163, v59, 0x3f6eb680, v170
	v_add_f32_e32 v7, v10, v9
	v_fma_f32 v9, 0xbe8c1d8e, v52, -v128
	v_fma_f32 v10, 0xbf59a7d5, v50, -v129
	v_dual_sub_f32 v12, v101, v76 :: v_dual_add_f32 v145, v163, v145
	s_delay_alu instid0(VALU_DEP_4) | instskip(SKIP_2) | instid1(VALU_DEP_3)
	v_dual_fmamk_f32 v163, v61, 0x3dbcf732, v173 :: v_dual_add_f32 v6, v8, v7
	v_fma_f32 v7, 0xbf7ba420, v61, -v126
	v_dual_add_f32 v8, v119, v0 :: v_dual_fmac_f32 v25, 0x3f6eb680, v66
	v_add_f32_e32 v145, v163, v145
	v_fmamk_f32 v163, v67, 0xbf59a7d5, v175
	s_delay_alu instid0(VALU_DEP_4) | instskip(SKIP_1) | instid1(VALU_DEP_3)
	v_add_f32_e32 v6, v7, v6
	v_fma_f32 v7, 0x3ee437d1, v67, -v127
	v_dual_add_f32 v8, v118, v8 :: v_dual_add_f32 v47, v163, v145
	v_fmamk_f32 v145, v52, 0x3f3d2fb0, v177
	v_fma_f32 v163, 0x3f6eb680, v58, -v178
	s_delay_alu instid0(VALU_DEP_3) | instskip(NEXT) | instid1(VALU_DEP_3)
	v_dual_add_f32 v7, v7, v6 :: v_dual_add_f32 v6, v112, v8
	v_add_f32_e32 v145, v145, v1
	s_delay_alu instid0(VALU_DEP_3) | instskip(SKIP_2) | instid1(VALU_DEP_4)
	v_add_f32_e32 v153, v163, v153
	v_fma_f32 v163, 0x3dbcf732, v60, -v171
	v_fmac_f32_e32 v171, 0x3dbcf732, v60
	v_add_f32_e32 v145, v179, v145
	v_fmamk_f32 v179, v53, 0xbf1a4643, v92
	s_delay_alu instid0(VALU_DEP_4) | instskip(SKIP_1) | instid1(VALU_DEP_3)
	v_dual_mul_f32 v180, 0xbf06c442, v86 :: v_dual_add_f32 v153, v163, v153
	v_fmac_f32_e32 v178, 0x3f6eb680, v58
	v_dual_fmac_f32 v172, 0xbf7ba420, v51 :: v_dual_add_f32 v145, v179, v145
	v_mul_f32_e32 v94, 0xbe3c28d5, v94
	s_delay_alu instid0(VALU_DEP_4) | instskip(SKIP_3) | instid1(VALU_DEP_4)
	v_fma_f32 v163, 0xbf59a7d5, v66, -v180
	v_fmac_f32_e32 v160, 0xbf59a7d5, v58
	v_fmac_f32_e32 v174, 0xbe8c1d8e, v54
	;; [unrolled: 1-line block ×3, first 2 shown]
	v_dual_fmamk_f32 v179, v56, 0xbf7ba420, v94 :: v_dual_add_f32 v46, v163, v153
	v_fma_f32 v153, 0x3f3d2fb0, v48, -v181
	v_fmamk_f32 v163, v57, 0xbf59a7d5, v93
	v_fmac_f32_e32 v181, 0x3f3d2fb0, v48
	s_delay_alu instid0(VALU_DEP_4) | instskip(NEXT) | instid1(VALU_DEP_4)
	v_dual_add_f32 v145, v179, v145 :: v_dual_mul_f32 v96, 0x3f763a35, v96
	v_add_f32_e32 v153, v153, v0
	v_fma_f32 v179, 0x3dbcf732, v49, -v85
	s_delay_alu instid0(VALU_DEP_3) | instskip(NEXT) | instid1(VALU_DEP_4)
	v_dual_mul_f32 v98, 0x3f65296c, v98 :: v_dual_add_f32 v145, v163, v145
	v_fmamk_f32 v163, v59, 0xbe8c1d8e, v96
	s_delay_alu instid0(VALU_DEP_3) | instskip(SKIP_2) | instid1(VALU_DEP_4)
	v_dual_mul_f32 v88, 0xbe3c28d5, v88 :: v_dual_add_f32 v153, v179, v153
	v_fma_f32 v179, 0xbf1a4643, v51, -v87
	v_dual_add_f32 v5, v65, v5 :: v_dual_fmac_f32 v140, 0xbf7ba420, v55
	v_add_f32_e32 v145, v163, v145
	v_fmamk_f32 v163, v61, 0x3ee437d1, v98
	s_delay_alu instid0(VALU_DEP_4) | instskip(SKIP_2) | instid1(VALU_DEP_4)
	v_add_f32_e32 v153, v179, v153
	v_fma_f32 v179, 0xbf7ba420, v54, -v88
	v_dual_add_f32 v9, v9, v1 :: v_dual_fmac_f32 v88, 0xbf7ba420, v54
	v_add_f32_e32 v145, v163, v145
	v_fma_f32 v163, 0xbf59a7d5, v55, -v89
	s_delay_alu instid0(VALU_DEP_4) | instskip(NEXT) | instid1(VALU_DEP_4)
	v_add_f32_e32 v153, v179, v153
	v_add_f32_e32 v8, v10, v9
	v_fma_f32 v9, 0x3f3d2fb0, v53, -v130
	v_add_f32_e32 v3, v110, v145
	v_fma_f32 v145, 0xbe8c1d8e, v58, -v90
	v_add_f32_e32 v110, v163, v153
	v_add_f32_e32 v10, v132, v0
	;; [unrolled: 1-line block ×3, first 2 shown]
	v_fma_f32 v9, 0x3ee437d1, v56, -v131
	v_fmac_f32_e32 v89, 0xbf59a7d5, v55
	v_add_f32_e32 v81, v145, v110
	v_add_f32_e32 v10, v134, v10
	v_fmac_f32_e32 v90, 0xbe8c1d8e, v58
	v_add_f32_e32 v8, v9, v8
	v_fma_f32 v9, 0xbf7ba420, v57, -v133
	v_add_f32_e32 v16, v75, v81
	v_add_f32_e32 v10, v136, v10
	s_delay_alu instid0(VALU_DEP_3) | instskip(NEXT) | instid1(VALU_DEP_3)
	v_add_f32_e32 v8, v9, v8
	v_add_f32_e32 v2, v19, v16
	v_sub_f32_e32 v16, v102, v68
	v_add_f32_e32 v19, v26, v24
	v_add_f32_e32 v24, v82, v105
	v_fma_f32 v9, 0x3dbcf732, v59, -v135
	v_add_f32_e32 v10, v138, v10
	v_dual_add_f32 v16, v16, v0 :: v_dual_fmac_f32 v85, 0x3dbcf732, v49
	s_delay_alu instid0(VALU_DEP_4) | instskip(SKIP_2) | instid1(VALU_DEP_4)
	v_add_f32_e32 v19, v24, v19
	v_add_f32_e32 v24, v84, v109
	;; [unrolled: 1-line block ×3, first 2 shown]
	v_dual_add_f32 v20, v21, v16 :: v_dual_sub_f32 v21, v100, v70
	v_fma_f32 v9, 0x3f6eb680, v61, -v137
	s_delay_alu instid0(VALU_DEP_4) | instskip(NEXT) | instid1(VALU_DEP_3)
	v_dual_add_f32 v16, v24, v19 :: v_dual_fmac_f32 v113, 0xbf59a7d5, v54
	v_dual_add_f32 v10, v140, v10 :: v_dual_add_f32 v19, v21, v20
	v_sub_f32_e32 v20, v97, v71
	s_delay_alu instid0(VALU_DEP_4) | instskip(NEXT) | instid1(VALU_DEP_4)
	v_dual_add_f32 v8, v9, v8 :: v_dual_sub_f32 v17, v63, v73
	v_add_f32_e32 v6, v113, v6
	v_fma_f32 v9, 0xbf1a4643, v67, -v139
	s_delay_alu instid0(VALU_DEP_4) | instskip(SKIP_1) | instid1(VALU_DEP_3)
	v_dual_add_f32 v18, v20, v19 :: v_dual_sub_f32 v19, v62, v72
	v_add_f32_e32 v10, v143, v10
	v_dual_add_f32 v6, v114, v6 :: v_dual_add_f32 v9, v9, v8
	v_dual_fmac_f32 v162, 0xbf1a4643, v60 :: v_dual_fmac_f32 v87, 0xbf1a4643, v51
	s_delay_alu instid0(VALU_DEP_4) | instskip(NEXT) | instid1(VALU_DEP_3)
	v_add_f32_e32 v15, v19, v18
	v_add_f32_e32 v6, v115, v6
	v_fma_f32 v19, 0x3f6eb680, v67, -v103
	v_mul_u32_u24_e32 v18, 17, v182
	v_fmac_f32_e32 v83, 0x3ee437d1, v60
	s_delay_alu instid0(VALU_DEP_4) | instskip(SKIP_1) | instid1(VALU_DEP_2)
	v_dual_add_f32 v13, v17, v15 :: v_dual_add_f32 v6, v116, v6
	v_fma_f32 v17, 0x3f3d2fb0, v52, -v177
	v_dual_add_f32 v11, v14, v13 :: v_dual_lshlrev_b32 v18, 3, v18
	v_fma_f32 v13, 0x3ee437d1, v52, -v159
	v_fma_f32 v14, 0xbf1a4643, v50, -v161
	s_delay_alu instid0(VALU_DEP_3) | instskip(SKIP_4) | instid1(VALU_DEP_4)
	v_add_f32_e32 v15, v12, v11
	v_fma_f32 v11, 0x3dbcf732, v52, -v141
	v_fmac_f32_e32 v142, 0x3f6eb680, v60
	v_fma_f32 v12, 0xbf7ba420, v50, -v144
	v_add_f32_e32 v13, v13, v1
	v_add_f32_e32 v11, v11, v1
	s_delay_alu instid0(VALU_DEP_4) | instskip(SKIP_1) | instid1(VALU_DEP_3)
	v_dual_fmac_f32 v149, 0x3dbcf732, v48 :: v_dual_add_f32 v8, v142, v10
	v_fmac_f32_e32 v117, 0x3ee437d1, v66
	v_dual_add_f32 v13, v14, v13 :: v_dual_add_f32 v10, v12, v11
	s_delay_alu instid0(VALU_DEP_3) | instskip(SKIP_1) | instid1(VALU_DEP_4)
	v_add_f32_e32 v12, v149, v0
	v_fma_f32 v11, 0xbe8c1d8e, v53, -v146
	v_add_f32_e32 v6, v117, v6
	v_fma_f32 v14, 0xbf7ba420, v53, -v164
	v_dual_fmac_f32 v154, 0xbe8c1d8e, v51 :: v_dual_add_f32 v1, v17, v1
	s_delay_alu instid0(VALU_DEP_4) | instskip(SKIP_1) | instid1(VALU_DEP_4)
	v_add_f32_e32 v10, v11, v10
	v_fma_f32 v11, 0x3f6eb680, v56, -v148
	v_add_f32_e32 v13, v14, v13
	v_fma_f32 v14, 0xbe8c1d8e, v56, -v166
	v_fma_f32 v17, 0xbf59a7d5, v67, -v175
	v_fmac_f32_e32 v176, 0x3f3d2fb0, v55
	v_add_f32_e32 v10, v11, v10
	v_fma_f32 v11, 0x3ee437d1, v57, -v151
	v_add_f32_e32 v13, v14, v13
	v_fma_f32 v14, 0x3f3d2fb0, v57, -v168
	v_fmac_f32_e32 v156, 0x3f6eb680, v54
	s_delay_alu instid0(VALU_DEP_4) | instskip(SKIP_1) | instid1(VALU_DEP_4)
	v_add_f32_e32 v10, v11, v10
	v_fma_f32 v11, 0xbf59a7d5, v59, -v150
	v_add_f32_e32 v13, v14, v13
	v_fma_f32 v14, 0x3f6eb680, v59, -v170
	s_delay_alu instid0(VALU_DEP_3) | instskip(SKIP_1) | instid1(VALU_DEP_1)
	v_add_f32_e32 v10, v11, v10
	v_fma_f32 v11, 0xbf1a4643, v61, -v155
	v_add_f32_e32 v10, v11, v10
	v_fma_f32 v11, 0x3f3d2fb0, v67, -v157
	s_delay_alu instid0(VALU_DEP_1) | instskip(SKIP_1) | instid1(VALU_DEP_2)
	v_dual_add_f32 v11, v11, v10 :: v_dual_add_f32 v12, v152, v12
	v_add_f32_e32 v8, v147, v8
	v_add_f32_e32 v12, v154, v12
	s_delay_alu instid0(VALU_DEP_1) | instskip(NEXT) | instid1(VALU_DEP_1)
	v_add_f32_e32 v12, v156, v12
	v_add_f32_e32 v12, v158, v12
	s_delay_alu instid0(VALU_DEP_1) | instskip(NEXT) | instid1(VALU_DEP_1)
	v_add_f32_e32 v12, v160, v12
	v_add_f32_e32 v10, v162, v12
	;; [unrolled: 1-line block ×3, first 2 shown]
	v_fma_f32 v13, 0x3dbcf732, v61, -v173
	v_add_f32_e32 v14, v167, v0
	s_delay_alu instid0(VALU_DEP_2) | instskip(NEXT) | instid1(VALU_DEP_2)
	v_add_f32_e32 v12, v13, v12
	v_add_f32_e32 v13, v169, v14
	v_fma_f32 v14, 0x3dbcf732, v50, -v91
	s_delay_alu instid0(VALU_DEP_2) | instskip(NEXT) | instid1(VALU_DEP_2)
	v_add_f32_e32 v13, v172, v13
	v_add_f32_e32 v1, v14, v1
	v_fma_f32 v14, 0xbf1a4643, v53, -v92
	s_delay_alu instid0(VALU_DEP_3) | instskip(NEXT) | instid1(VALU_DEP_2)
	v_add_f32_e32 v13, v174, v13
	v_add_f32_e32 v1, v14, v1
	v_fma_f32 v14, 0xbf7ba420, v56, -v94
	s_delay_alu instid0(VALU_DEP_3) | instskip(NEXT) | instid1(VALU_DEP_2)
	v_dual_add_f32 v13, v176, v13 :: v_dual_add_f32 v10, v165, v10
	v_add_f32_e32 v1, v14, v1
	v_fma_f32 v14, 0xbf59a7d5, v57, -v93
	s_delay_alu instid0(VALU_DEP_3) | instskip(NEXT) | instid1(VALU_DEP_2)
	v_dual_add_f32 v0, v181, v0 :: v_dual_add_f32 v13, v178, v13
	v_add_f32_e32 v1, v14, v1
	v_fma_f32 v14, 0xbe8c1d8e, v59, -v96
	s_delay_alu instid0(VALU_DEP_1) | instskip(NEXT) | instid1(VALU_DEP_1)
	v_dual_add_f32 v0, v85, v0 :: v_dual_add_f32 v1, v14, v1
	v_add_f32_e32 v0, v87, v0
	v_fma_f32 v14, 0x3ee437d1, v61, -v98
	s_delay_alu instid0(VALU_DEP_1) | instskip(NEXT) | instid1(VALU_DEP_3)
	v_add_f32_e32 v14, v14, v1
	v_dual_add_f32 v0, v88, v0 :: v_dual_add_f32 v13, v171, v13
	v_add_f32_e32 v1, v17, v12
	s_delay_alu instid0(VALU_DEP_2) | instskip(NEXT) | instid1(VALU_DEP_1)
	v_add_f32_e32 v0, v89, v0
	v_add_f32_e32 v0, v90, v0
	s_delay_alu instid0(VALU_DEP_1) | instskip(SKIP_1) | instid1(VALU_DEP_2)
	v_add_f32_e32 v20, v83, v0
	v_dual_add_f32 v0, v180, v13 :: v_dual_add_f32 v13, v19, v14
	v_add_f32_e32 v12, v25, v20
	ds_store_2addr_b64 v18, v[4:5], v[15:16] offset1:1
	ds_store_2addr_b64 v18, v[2:3], v[46:47] offset0:2 offset1:3
	ds_store_2addr_b64 v18, v[44:45], v[42:43] offset0:4 offset1:5
	;; [unrolled: 1-line block ×7, first 2 shown]
	ds_store_b64 v18, v[242:243] offset:128
.LBB0_7:
	s_or_b32 exec_lo, exec_lo, s0
	scratch_load_b32 v3, off, off           ; 4-byte Folded Reload
	v_add_nc_u32_e32 v169, 0x1000, v244
	s_waitcnt vmcnt(0) lgkmcnt(0)
	s_barrier
	buffer_gl0_inv
	v_add_nc_u32_e32 v180, 0x1800, v244
	ds_load_2addr_b64 v[36:39], v169 offset0:202 offset1:253
	v_add_nc_u32_e32 v170, 0x2000, v244
	ds_load_2addr_b64 v[24:27], v169 offset0:100 offset1:151
	v_add_nc_u32_e32 v179, 0x2800, v244
	v_add_nc_u32_e32 v181, 0x1c00, v244
	ds_load_2addr_b64 v[20:23], v170 offset0:98 offset1:149
	v_and_b32_e32 v1, 0xff, v182
	s_delay_alu instid0(VALU_DEP_1) | instskip(NEXT) | instid1(VALU_DEP_1)
	v_mul_lo_u16 v1, 0xf1, v1
	v_lshrrev_b16 v28, 12, v1
	s_delay_alu instid0(VALU_DEP_1) | instskip(SKIP_3) | instid1(VALU_DEP_3)
	v_mul_lo_u16 v1, v28, 17
	v_and_b32_e32 v0, 0xff, v3
	v_add_co_u32 v92, null, 0x66, v3
	v_add_co_u32 v93, null, 0x99, v3
	v_mul_lo_u16 v0, 0xf1, v0
	s_delay_alu instid0(VALU_DEP_3) | instskip(SKIP_2) | instid1(VALU_DEP_4)
	v_and_b32_e32 v40, 0xff, v92
	v_add_co_u32 v101, null, 0xcc, v3
	v_add_co_u32 v100, null, 0xff, v3
	v_lshrrev_b16 v8, 12, v0
	s_delay_alu instid0(VALU_DEP_4) | instskip(SKIP_2) | instid1(VALU_DEP_4)
	v_mul_lo_u16 v2, 0xf1, v40
	v_add_co_u32 v108, null, 0x132, v3
	v_add_co_u32 v109, null, 0x165, v3
	v_mul_lo_u16 v0, v8, 17
	s_delay_alu instid0(VALU_DEP_4) | instskip(SKIP_2) | instid1(VALU_DEP_4)
	v_lshrrev_b16 v29, 12, v2
	v_add_co_u32 v116, null, 0x198, v3
	v_add_co_u32 v117, null, 0x1cb, v3
	v_sub_nc_u16 v9, v3, v0
	v_sub_nc_u16 v0, v182, v1
	v_add_co_u32 v124, null, 0x1fe, v3
	s_delay_alu instid0(VALU_DEP_3) | instskip(NEXT) | instid1(VALU_DEP_3)
	v_lshlrev_b16 v1, 1, v9
	v_and_b32_e32 v31, 0xff, v0
	v_mul_lo_u16 v0, v29, 17
	v_mad_u16 v74, v8, 51, v9
	s_delay_alu instid0(VALU_DEP_4) | instskip(NEXT) | instid1(VALU_DEP_3)
	v_and_b32_e32 v1, 0xfe, v1
	v_sub_nc_u16 v0, v92, v0
	s_delay_alu instid0(VALU_DEP_1) | instskip(SKIP_1) | instid1(VALU_DEP_2)
	v_and_b32_e32 v30, 0xff, v0
	v_mov_b32_e32 v0, v182
	v_lshlrev_b32_e32 v10, 4, v30
	global_load_b128 v[16:19], v10, s[2:3]
	v_and_b32_e32 v10, 0xff, v93
	v_lshlrev_b32_e32 v2, 4, v31
	s_delay_alu instid0(VALU_DEP_2) | instskip(NEXT) | instid1(VALU_DEP_1)
	v_mul_lo_u16 v10, 0xf1, v10
	v_lshrrev_b16 v33, 12, v10
	s_delay_alu instid0(VALU_DEP_1) | instskip(NEXT) | instid1(VALU_DEP_1)
	v_mul_lo_u16 v10, v33, 17
	v_sub_nc_u16 v10, v93, v10
	s_waitcnt vmcnt(0) lgkmcnt(1)
	v_mul_f32_e32 v99, v26, v17
	global_load_b128 v[12:15], v2, s[2:3]
	v_lshlrev_b32_e32 v1, 3, v1
	scratch_store_b128 off, v[16:19], off offset:180 ; 16-byte Folded Spill
	v_fmac_f32_e32 v99, v27, v16
	global_load_b128 v[4:7], v1, s[2:3]
	v_and_b32_e32 v35, 0xff, v10
	v_add_nc_u32_e32 v172, 0xc00, v244
	s_delay_alu instid0(VALU_DEP_2)
	v_lshlrev_b32_e32 v10, 4, v35
	global_load_b128 v[44:47], v10, s[2:3]
	s_waitcnt vmcnt(2) lgkmcnt(0)
	v_mul_f32_e32 v10, v23, v15
	v_mul_f32_e32 v96, v22, v15
	scratch_store_b128 off, v[12:15], off offset:164 ; 16-byte Folded Spill
	v_fma_f32 v97, v22, v14, -v10
	s_waitcnt vmcnt(1)
	v_mul_f32_e32 v11, v21, v7
	v_mul_f32_e32 v72, v20, v7
	v_fmac_f32_e32 v96, v23, v14
	v_mul_f32_e32 v10, v25, v13
	v_mul_lo_u16 v40, 0xa1, v40
	v_fma_f32 v73, v20, v6, -v11
	v_dual_fmac_f32 v72, v21, v6 :: v_dual_mul_f32 v11, v27, v17
	s_delay_alu instid0(VALU_DEP_4)
	v_fma_f32 v102, v24, v12, -v10
	v_add_nc_u32_e32 v182, 0x800, v244
	v_lshrrev_b16 v40, 13, v40
	s_waitcnt vmcnt(0)
	v_mul_f32_e32 v107, v36, v45
	ds_load_2addr_b64 v[20:23], v170 offset0:200 offset1:251
	v_fma_f32 v103, v26, v16, -v11
	v_and_b32_e32 v11, 0xff, v101
	scratch_store_b128 off, v[44:47], off offset:196 ; 16-byte Folded Spill
	v_fmac_f32_e32 v107, v37, v44
	v_mul_lo_u16 v40, v40, 51
	v_mul_lo_u16 v11, 0xf1, v11
	s_delay_alu instid0(VALU_DEP_2) | instskip(SKIP_1) | instid1(VALU_DEP_3)
	v_sub_nc_u16 v40, v92, v40
	v_lshlrev_b32_e32 v92, 4, v92
	v_lshrrev_b16 v51, 12, v11
	s_waitcnt lgkmcnt(0)
	v_mul_f32_e32 v10, v21, v19
	v_mul_f32_e32 v105, v20, v19
	s_delay_alu instid0(VALU_DEP_2) | instskip(NEXT) | instid1(VALU_DEP_2)
	v_fma_f32 v104, v20, v18, -v10
	v_dual_mul_f32 v10, v23, v47 :: v_dual_fmac_f32 v105, v21, v18
	v_and_b32_e32 v28, 0xffff, v28
	s_delay_alu instid0(VALU_DEP_2) | instskip(SKIP_1) | instid1(VALU_DEP_3)
	v_fma_f32 v54, v22, v46, -v10
	v_and_b32_e32 v10, 0xffff, v100
	v_mul_u32_u24_e32 v28, 51, v28
	s_delay_alu instid0(VALU_DEP_2) | instskip(NEXT) | instid1(VALU_DEP_1)
	v_mul_u32_u24_e32 v10, 0xf0f1, v10
	v_lshrrev_b32_e32 v42, 20, v10
	s_delay_alu instid0(VALU_DEP_1) | instskip(NEXT) | instid1(VALU_DEP_1)
	v_mul_lo_u16 v10, v42, 17
	v_sub_nc_u16 v43, v100, v10
	v_mul_lo_u16 v10, v51, 17
	v_lshlrev_b32_e32 v100, 4, v100
	s_delay_alu instid0(VALU_DEP_3) | instskip(SKIP_1) | instid1(VALU_DEP_4)
	v_lshlrev_b16 v11, 1, v43
	v_mul_f32_e32 v98, v24, v13
	v_sub_nc_u16 v10, v101, v10
	v_lshlrev_b32_e32 v101, 4, v101
	s_delay_alu instid0(VALU_DEP_3) | instskip(NEXT) | instid1(VALU_DEP_3)
	v_dual_fmac_f32 v98, v25, v12 :: v_dual_and_b32 v11, 0xffff, v11
	v_and_b32_e32 v52, 0xff, v10
	v_mul_f32_e32 v56, v22, v47
	s_delay_alu instid0(VALU_DEP_3) | instskip(NEXT) | instid1(VALU_DEP_1)
	v_dual_mul_f32 v11, v37, v45 :: v_dual_lshlrev_b32 v10, 3, v11
	v_fma_f32 v106, v36, v44, -v11
	s_delay_alu instid0(VALU_DEP_4)
	v_lshlrev_b32_e32 v11, 4, v52
	s_clause 0x1
	global_load_b128 v[12:15], v11, s[2:3]
	global_load_b128 v[16:19], v10, s[2:3]
	v_fmac_f32_e32 v56, v23, v46
	ds_load_2addr_b64 v[57:60], v180 offset0:48 offset1:99
	v_and_b32_e32 v11, 0xffff, v109
	s_delay_alu instid0(VALU_DEP_1) | instskip(NEXT) | instid1(VALU_DEP_1)
	v_mul_u32_u24_e32 v11, 0xf0f1, v11
	v_lshrrev_b32_e32 v49, 20, v11
	s_waitcnt vmcnt(1)
	v_mul_f32_e32 v10, v39, v13
	v_mul_f32_e32 v111, v38, v13
	s_waitcnt vmcnt(0) lgkmcnt(0)
	v_mul_f32_e32 v121, v57, v17
	v_mul_f32_e32 v32, v58, v17
	v_fma_f32 v110, v38, v12, -v10
	v_fmac_f32_e32 v111, v39, v12
	ds_load_2addr_b64 v[36:39], v179 offset0:46 offset1:97
	v_fmac_f32_e32 v121, v58, v16
	v_fma_f32 v120, v57, v16, -v32
	s_waitcnt lgkmcnt(0)
	v_mul_f32_e32 v115, v38, v19
	v_mul_f32_e32 v10, v37, v15
	;; [unrolled: 1-line block ×3, first 2 shown]
	s_delay_alu instid0(VALU_DEP_3) | instskip(NEXT) | instid1(VALU_DEP_3)
	v_fmac_f32_e32 v115, v39, v18
	v_fma_f32 v112, v36, v14, -v10
	s_delay_alu instid0(VALU_DEP_3) | instskip(NEXT) | instid1(VALU_DEP_1)
	v_dual_mul_f32 v10, v39, v19 :: v_dual_fmac_f32 v113, v37, v14
	v_fma_f32 v114, v38, v18, -v10
	v_and_b32_e32 v10, 0xffff, v108
	s_delay_alu instid0(VALU_DEP_1) | instskip(NEXT) | instid1(VALU_DEP_1)
	v_mul_u32_u24_e32 v10, 0xf0f1, v10
	v_lshrrev_b32_e32 v118, 20, v10
	s_delay_alu instid0(VALU_DEP_1) | instskip(NEXT) | instid1(VALU_DEP_1)
	v_mul_lo_u16 v10, v118, 17
	v_sub_nc_u16 v119, v108, v10
	v_mul_lo_u16 v10, v49, 17
	v_lshlrev_b32_e32 v108, 4, v108
	s_delay_alu instid0(VALU_DEP_2) | instskip(NEXT) | instid1(VALU_DEP_4)
	v_sub_nc_u16 v50, v109, v10
	v_lshlrev_b16 v10, 1, v119
	s_delay_alu instid0(VALU_DEP_2) | instskip(NEXT) | instid1(VALU_DEP_2)
	v_lshlrev_b16 v11, 1, v50
	v_and_b32_e32 v10, 0xffff, v10
	s_delay_alu instid0(VALU_DEP_2) | instskip(NEXT) | instid1(VALU_DEP_2)
	v_and_b32_e32 v11, 0xffff, v11
	v_lshlrev_b32_e32 v10, 3, v10
	s_delay_alu instid0(VALU_DEP_2) | instskip(SKIP_4) | instid1(VALU_DEP_1)
	v_lshlrev_b32_e32 v11, 3, v11
	s_clause 0x1
	global_load_b128 v[20:23], v10, s[2:3]
	global_load_b128 v[24:27], v11, s[2:3]
	v_and_b32_e32 v11, 0xffff, v117
	v_mul_u32_u24_e32 v11, 0xf0f1, v11
	s_delay_alu instid0(VALU_DEP_1) | instskip(SKIP_3) | instid1(VALU_DEP_2)
	v_lshrrev_b32_e32 v53, 20, v11
	s_waitcnt vmcnt(1)
	v_mul_f32_e32 v10, v60, v21
	v_mul_f32_e32 v123, v59, v21
	v_fma_f32 v122, v59, v20, -v10
	s_delay_alu instid0(VALU_DEP_2) | instskip(SKIP_3) | instid1(VALU_DEP_1)
	v_fmac_f32_e32 v123, v60, v20
	ds_load_2addr_b64 v[57:60], v179 offset0:148 offset1:199
	s_waitcnt lgkmcnt(0)
	v_mul_f32_e32 v10, v58, v23
	v_fma_f32 v125, v57, v22, -v10
	s_waitcnt vmcnt(0)
	v_mul_f32_e32 v10, v60, v27
	s_delay_alu instid0(VALU_DEP_1)
	v_fma_f32 v127, v59, v26, -v10
	v_mul_f32_e32 v59, v59, v27
	v_mul_f32_e32 v126, v57, v23
	ds_load_2addr_b64 v[62:65], v180 offset0:150 offset1:201
	v_dual_fmac_f32 v59, v60, v26 :: v_dual_and_b32 v10, 0xffff, v116
	v_fmac_f32_e32 v126, v58, v22
	s_delay_alu instid0(VALU_DEP_2) | instskip(NEXT) | instid1(VALU_DEP_1)
	v_mul_u32_u24_e32 v10, 0xf0f1, v10
	v_lshrrev_b32_e32 v128, 20, v10
	s_delay_alu instid0(VALU_DEP_1) | instskip(SKIP_2) | instid1(VALU_DEP_2)
	v_mul_lo_u16 v10, v128, 17
	s_waitcnt lgkmcnt(0)
	v_mul_f32_e32 v131, v62, v25
	v_sub_nc_u16 v129, v116, v10
	v_mul_lo_u16 v10, v53, 17
	v_mul_f32_e32 v32, v63, v25
	v_lshlrev_b32_e32 v116, 4, v116
	v_fmac_f32_e32 v131, v63, v24
	s_delay_alu instid0(VALU_DEP_4) | instskip(SKIP_2) | instid1(VALU_DEP_3)
	v_sub_nc_u16 v55, v117, v10
	v_lshlrev_b16 v10, 1, v129
	v_fma_f32 v130, v62, v24, -v32
	v_lshlrev_b16 v11, 1, v55
	s_delay_alu instid0(VALU_DEP_3) | instskip(NEXT) | instid1(VALU_DEP_2)
	v_and_b32_e32 v10, 0xffff, v10
	v_and_b32_e32 v11, 0xffff, v11
	s_delay_alu instid0(VALU_DEP_2) | instskip(NEXT) | instid1(VALU_DEP_2)
	v_lshlrev_b32_e32 v10, 3, v10
	v_lshlrev_b32_e32 v11, 3, v11
	s_clause 0x1
	global_load_b128 v[36:39], v10, s[2:3]
	global_load_b128 v[44:47], v11, s[2:3]
	v_add_nc_u32_e32 v171, 0x2c00, v244
	scratch_store_b128 off, v[4:7], off offset:148 ; 16-byte Folded Spill
	s_waitcnt vmcnt(1)
	v_mul_f32_e32 v10, v65, v37
	v_mul_f32_e32 v133, v64, v37
	s_delay_alu instid0(VALU_DEP_2) | instskip(NEXT) | instid1(VALU_DEP_2)
	v_fma_f32 v132, v64, v36, -v10
	v_fmac_f32_e32 v133, v65, v36
	ds_load_2addr_b64 v[64:67], v171 offset0:122 offset1:173
	s_waitcnt lgkmcnt(0)
	v_mul_f32_e32 v10, v65, v39
	v_mul_f32_e32 v135, v64, v39
	s_delay_alu instid0(VALU_DEP_2) | instskip(SKIP_2) | instid1(VALU_DEP_1)
	v_fma_f32 v134, v64, v38, -v10
	s_waitcnt vmcnt(0)
	v_mul_f32_e32 v10, v67, v47
	v_fma_f32 v136, v66, v46, -v10
	v_and_b32_e32 v10, 0xffff, v124
	s_delay_alu instid0(VALU_DEP_1) | instskip(NEXT) | instid1(VALU_DEP_1)
	v_mul_u32_u24_e32 v10, 0xf0f1, v10
	v_lshrrev_b32_e32 v32, 20, v10
	s_delay_alu instid0(VALU_DEP_1) | instskip(NEXT) | instid1(VALU_DEP_1)
	v_mul_lo_u16 v10, v32, 17
	v_sub_nc_u16 v34, v124, v10
	v_lshlrev_b32_e32 v124, 4, v124
	s_delay_alu instid0(VALU_DEP_2) | instskip(NEXT) | instid1(VALU_DEP_1)
	v_lshlrev_b16 v10, 1, v34
	v_dual_mul_f32 v137, v66, v47 :: v_dual_and_b32 v10, 0xffff, v10
	s_delay_alu instid0(VALU_DEP_1)
	v_lshlrev_b32_e32 v10, 3, v10
	global_load_b128 v[60:63], v10, s[2:3]
	v_fmac_f32_e32 v135, v65, v38
	v_fmac_f32_e32 v137, v67, v46
	ds_load_2addr_b64 v[64:67], v181 offset0:124 offset1:175
	s_waitcnt lgkmcnt(0)
	v_mul_f32_e32 v11, v65, v45
	s_delay_alu instid0(VALU_DEP_1) | instskip(SKIP_3) | instid1(VALU_DEP_2)
	v_fma_f32 v138, v64, v44, -v11
	s_waitcnt vmcnt(0)
	v_mul_f32_e32 v48, v66, v61
	v_mul_f32_e32 v10, v67, v61
	v_dual_mul_f32 v139, v64, v45 :: v_dual_fmac_f32 v48, v67, v60
	s_delay_alu instid0(VALU_DEP_2)
	v_fma_f32 v41, v66, v60, -v10
	ds_load_2addr_b64 v[8:11], v172 offset0:126 offset1:177
	v_fmac_f32_e32 v139, v65, v44
	ds_load_2addr_b64 v[64:67], v244 offset1:51
	s_waitcnt lgkmcnt(1)
	v_mul_f32_e32 v57, v11, v5
	s_delay_alu instid0(VALU_DEP_1) | instskip(SKIP_1) | instid1(VALU_DEP_1)
	v_fma_f32 v57, v10, v4, -v57
	v_mul_f32_e32 v10, v10, v5
	v_dual_sub_f32 v141, v57, v73 :: v_dual_fmac_f32 v10, v11, v4
	s_waitcnt lgkmcnt(0)
	s_delay_alu instid0(VALU_DEP_1) | instskip(SKIP_1) | instid1(VALU_DEP_2)
	v_dual_add_f32 v11, v65, v10 :: v_dual_sub_f32 v140, v10, v72
	v_add_f32_e32 v58, v10, v72
	v_dual_add_f32 v10, v64, v57 :: v_dual_add_f32 v11, v11, v72
	v_add_f32_e32 v72, v57, v73
	s_delay_alu instid0(VALU_DEP_3) | instskip(NEXT) | instid1(VALU_DEP_2)
	v_fma_f32 v58, -0.5, v58, v65
	v_fma_f32 v57, -0.5, v72, v64
	v_and_b32_e32 v64, 0xff, v74
	s_delay_alu instid0(VALU_DEP_3)
	v_dual_add_f32 v10, v10, v73 :: v_dual_fmamk_f32 v65, v141, 0xbf5db3d7, v58
	ds_load_b64 v[94:95], v244 offset:13056
	ds_load_2addr_b64 v[72:75], v244 offset0:102 offset1:153
	ds_load_2addr_b64 v[80:83], v244 offset0:204 offset1:255
	;; [unrolled: 1-line block ×4, first 2 shown]
	s_waitcnt lgkmcnt(0)
	s_waitcnt_vscnt null, 0x0
	v_dual_fmamk_f32 v64, v140, 0x3f5db3d7, v57 :: v_dual_lshlrev_b32 v1, 3, v64
	s_barrier
	buffer_gl0_inv
	v_fmac_f32_e32 v57, 0xbf5db3d7, v140
	v_fmac_f32_e32 v58, 0x3f5db3d7, v141
	ds_store_2addr_b64 v1, v[10:11], v[64:65] offset1:17
	v_sub_f32_e32 v65, v102, v97
	v_sub_f32_e32 v64, v98, v96
	v_add_f32_e32 v10, v67, v98
	scratch_store_b32 off, v1, off offset:212 ; 4-byte Folded Spill
	ds_store_b64 v1, v[57:58] offset:272
	v_add_f32_e32 v57, v98, v96
	v_add_lshl_u32 v1, v28, v31, 3
	v_add_f32_e32 v11, v10, v96
	v_dual_add_f32 v10, v66, v102 :: v_dual_sub_f32 v31, v99, v105
	v_add_f32_e32 v58, v102, v97
	v_fmac_f32_e32 v67, -0.5, v57
	v_add_f32_e32 v28, v99, v105
	scratch_store_b32 off, v1, off offset:216 ; 4-byte Folded Spill
	v_fma_f32 v66, -0.5, v58, v66
	v_fmamk_f32 v58, v65, 0xbf5db3d7, v67
	v_fmac_f32_e32 v67, 0x3f5db3d7, v65
	s_delay_alu instid0(VALU_DEP_3)
	v_fmamk_f32 v57, v64, 0x3f5db3d7, v66
	v_fmac_f32_e32 v66, 0xbf5db3d7, v64
	v_sub_f32_e32 v64, v103, v104
	v_add_f32_e32 v10, v10, v97
	ds_store_b64 v1, v[66:67] offset:272
	ds_store_2addr_b64 v1, v[10:11], v[57:58] offset1:17
	v_add_f32_e32 v57, v103, v104
	v_fma_f32 v58, -0.5, v28, v73
	v_and_b32_e32 v28, 0xffff, v29
	v_add_f32_e32 v10, v73, v99
	s_delay_alu instid0(VALU_DEP_4) | instskip(NEXT) | instid1(VALU_DEP_4)
	v_fma_f32 v57, -0.5, v57, v72
	v_fmamk_f32 v29, v64, 0xbf5db3d7, v58
	s_delay_alu instid0(VALU_DEP_4) | instskip(SKIP_1) | instid1(VALU_DEP_2)
	v_mul_u32_u24_e32 v28, 51, v28
	v_fmac_f32_e32 v58, 0x3f5db3d7, v64
	v_add_lshl_u32 v1, v28, v30, 3
	v_fmamk_f32 v28, v31, 0x3f5db3d7, v57
	v_fmac_f32_e32 v57, 0xbf5db3d7, v31
	v_sub_f32_e32 v31, v106, v54
	v_dual_add_f32 v11, v10, v105 :: v_dual_add_f32 v10, v72, v103
	scratch_store_b32 off, v1, off offset:220 ; 4-byte Folded Spill
	v_add_f32_e32 v10, v10, v104
	ds_store_2addr_b64 v1, v[10:11], v[28:29] offset1:17
	v_add_f32_e32 v28, v107, v56
	v_dual_add_f32 v10, v75, v107 :: v_dual_add_f32 v29, v106, v54
	s_delay_alu instid0(VALU_DEP_2) | instskip(NEXT) | instid1(VALU_DEP_2)
	v_dual_fmac_f32 v75, -0.5, v28 :: v_dual_and_b32 v28, 0xffff, v33
	v_add_f32_e32 v11, v10, v56
	v_add_f32_e32 v10, v74, v106
	s_delay_alu instid0(VALU_DEP_4)
	v_fma_f32 v74, -0.5, v29, v74
	v_sub_f32_e32 v33, v111, v113
	v_mul_u32_u24_e32 v28, 51, v28
	ds_store_b64 v1, v[57:58] offset:272
	v_fmamk_f32 v29, v31, 0xbf5db3d7, v75
	v_fmac_f32_e32 v75, 0x3f5db3d7, v31
	v_add_lshl_u32 v1, v28, v35, 3
	v_sub_f32_e32 v35, v110, v112
	v_sub_f32_e32 v30, v107, v56
	v_add_f32_e32 v10, v10, v54
	scratch_store_b32 off, v1, off offset:224 ; 4-byte Folded Spill
	v_fmamk_f32 v28, v30, 0x3f5db3d7, v74
	ds_store_2addr_b64 v1, v[10:11], v[28:29] offset1:17
	v_dual_add_f32 v29, v111, v113 :: v_dual_add_f32 v28, v110, v112
	s_delay_alu instid0(VALU_DEP_1) | instskip(NEXT) | instid1(VALU_DEP_2)
	v_fma_f32 v29, -0.5, v29, v81
	v_fma_f32 v28, -0.5, v28, v80
	s_delay_alu instid0(VALU_DEP_2)
	v_fmamk_f32 v31, v35, 0xbf5db3d7, v29
	v_fmac_f32_e32 v29, 0x3f5db3d7, v35
	v_fmac_f32_e32 v74, 0xbf5db3d7, v30
	v_dual_sub_f32 v35, v122, v125 :: v_dual_and_b32 v30, 0xffff, v51
	ds_store_b64 v1, v[74:75] offset:272
	v_mul_u32_u24_e32 v30, 51, v30
	s_delay_alu instid0(VALU_DEP_1)
	v_add_lshl_u32 v1, v30, v52, 3
	v_fmamk_f32 v30, v33, 0x3f5db3d7, v28
	v_dual_fmac_f32 v28, 0xbf5db3d7, v33 :: v_dual_sub_f32 v33, v120, v114
	v_add_f32_e32 v10, v81, v111
	scratch_store_b32 off, v1, off offset:232 ; 4-byte Folded Spill
	ds_store_b64 v1, v[28:29] offset:272
	v_mad_u16 v28, v42, 51, v43
	v_dual_add_f32 v11, v10, v113 :: v_dual_add_f32 v10, v80, v110
	s_delay_alu instid0(VALU_DEP_2) | instskip(NEXT) | instid1(VALU_DEP_2)
	v_dual_add_f32 v29, v121, v115 :: v_dual_and_b32 v28, 0xffff, v28
	v_add_f32_e32 v10, v10, v112
	ds_store_2addr_b64 v1, v[10:11], v[30:31] offset1:17
	v_dual_add_f32 v10, v83, v121 :: v_dual_add_f32 v31, v120, v114
	v_dual_sub_f32 v30, v121, v115 :: v_dual_fmac_f32 v83, -0.5, v29
	v_lshlrev_b32_e32 v1, 3, v28
	s_delay_alu instid0(VALU_DEP_3)
	v_add_f32_e32 v11, v10, v115
	v_add_f32_e32 v10, v82, v120
	v_fma_f32 v82, -0.5, v31, v82
	v_fmamk_f32 v29, v33, 0xbf5db3d7, v83
	v_fmac_f32_e32 v83, 0x3f5db3d7, v33
	v_sub_f32_e32 v33, v123, v126
	v_add_f32_e32 v10, v10, v114
	v_fmamk_f32 v28, v30, 0x3f5db3d7, v82
	scratch_store_b32 off, v1, off offset:236 ; 4-byte Folded Spill
	ds_store_2addr_b64 v1, v[10:11], v[28:29] offset1:17
	v_dual_add_f32 v29, v123, v126 :: v_dual_add_f32 v28, v122, v125
	s_delay_alu instid0(VALU_DEP_1) | instskip(NEXT) | instid1(VALU_DEP_2)
	v_fma_f32 v29, -0.5, v29, v85
	v_fma_f32 v28, -0.5, v28, v84
	s_delay_alu instid0(VALU_DEP_2)
	v_dual_fmamk_f32 v31, v35, 0xbf5db3d7, v29 :: v_dual_fmac_f32 v82, 0xbf5db3d7, v30
	v_mad_u16 v30, v118, 51, v119
	v_fmac_f32_e32 v29, 0x3f5db3d7, v35
	v_sub_f32_e32 v35, v132, v134
	ds_store_b64 v1, v[82:83] offset:272
	v_and_b32_e32 v30, 0xffff, v30
	s_delay_alu instid0(VALU_DEP_1) | instskip(SKIP_4) | instid1(VALU_DEP_1)
	v_dual_fmamk_f32 v30, v33, 0x3f5db3d7, v28 :: v_dual_lshlrev_b32 v1, 3, v30
	v_dual_fmac_f32 v28, 0xbf5db3d7, v33 :: v_dual_sub_f32 v33, v130, v127
	scratch_store_b32 off, v1, off offset:240 ; 4-byte Folded Spill
	ds_store_b64 v1, v[28:29] offset:272
	v_mad_u16 v28, v49, 51, v50
	v_dual_add_f32 v29, v131, v59 :: v_dual_and_b32 v28, 0xffff, v28
	v_add_f32_e32 v10, v85, v123
	s_delay_alu instid0(VALU_DEP_1) | instskip(SKIP_1) | instid1(VALU_DEP_1)
	v_add_f32_e32 v11, v10, v126
	v_add_f32_e32 v10, v84, v122
	v_add_f32_e32 v10, v10, v125
	ds_store_2addr_b64 v1, v[10:11], v[30:31] offset1:17
	v_add_f32_e32 v10, v87, v131
	v_add_f32_e32 v31, v130, v127
	v_dual_sub_f32 v30, v131, v59 :: v_dual_fmac_f32 v87, -0.5, v29
	v_lshlrev_b32_e32 v1, 3, v28
	s_delay_alu instid0(VALU_DEP_4)
	v_add_f32_e32 v11, v10, v59
	v_add_f32_e32 v10, v86, v130
	v_fma_f32 v86, -0.5, v31, v86
	v_fmamk_f32 v29, v33, 0xbf5db3d7, v87
	v_fmac_f32_e32 v87, 0x3f5db3d7, v33
	v_sub_f32_e32 v33, v133, v135
	v_add_f32_e32 v10, v10, v127
	v_fmamk_f32 v28, v30, 0x3f5db3d7, v86
	v_fmac_f32_e32 v86, 0xbf5db3d7, v30
	v_mad_u16 v30, v128, 51, v129
	scratch_store_b32 off, v1, off offset:260 ; 4-byte Folded Spill
	ds_store_2addr_b64 v1, v[10:11], v[28:29] offset1:17
	v_dual_add_f32 v29, v133, v135 :: v_dual_add_f32 v28, v132, v134
	v_and_b32_e32 v42, 0xffff, v30
	ds_store_b64 v1, v[86:87] offset:272
	v_add_f32_e32 v10, v89, v133
	v_fma_f32 v29, -0.5, v29, v89
	v_fma_f32 v28, -0.5, v28, v88
	v_lshlrev_b32_e32 v1, 3, v42
	s_delay_alu instid0(VALU_DEP_3) | instskip(NEXT) | instid1(VALU_DEP_3)
	v_fmamk_f32 v31, v35, 0xbf5db3d7, v29
	v_fmamk_f32 v30, v33, 0x3f5db3d7, v28
	v_fmac_f32_e32 v28, 0xbf5db3d7, v33
	v_fmac_f32_e32 v29, 0x3f5db3d7, v35
	v_sub_f32_e32 v33, v138, v136
	v_add_f32_e32 v11, v10, v135
	scratch_store_b32 off, v1, off offset:268 ; 4-byte Folded Spill
	ds_store_b64 v1, v[28:29] offset:272
	v_mad_u16 v29, v53, 51, v55
	v_add_f32_e32 v10, v88, v132
	v_add_f32_e32 v28, v139, v137
	s_delay_alu instid0(VALU_DEP_2) | instskip(SKIP_3) | instid1(VALU_DEP_2)
	v_add_f32_e32 v10, v10, v134
	ds_store_2addr_b64 v1, v[10:11], v[30:31] offset1:17
	v_dual_add_f32 v10, v91, v139 :: v_dual_add_f32 v31, v138, v136
	v_fmac_f32_e32 v91, -0.5, v28
	v_add_f32_e32 v11, v10, v137
	v_add_f32_e32 v10, v90, v138
	s_delay_alu instid0(VALU_DEP_4) | instskip(SKIP_3) | instid1(VALU_DEP_3)
	v_fma_f32 v90, -0.5, v31, v90
	v_and_b32_e32 v31, 0xffff, v29
	v_fmamk_f32 v29, v33, 0xbf5db3d7, v91
	v_fmac_f32_e32 v91, 0x3f5db3d7, v33
	v_lshlrev_b32_e32 v1, 3, v31
	v_mad_u16 v31, v32, 51, v34
	v_sub_f32_e32 v30, v139, v137
	scratch_store_b32 off, v1, off offset:264 ; 4-byte Folded Spill
	v_dual_add_f32 v10, v10, v136 :: v_dual_and_b32 v31, 0xffff, v31
	v_fmamk_f32 v28, v30, 0x3f5db3d7, v90
	v_fmac_f32_e32 v90, 0xbf5db3d7, v30
	ds_store_2addr_b64 v1, v[10:11], v[28:29] offset1:17
	v_mul_f32_e32 v11, v95, v63
	ds_store_b64 v1, v[90:91] offset:272
	v_lshlrev_b32_e32 v1, 3, v31
	v_fma_f32 v28, v94, v62, -v11
	v_add_f32_e32 v11, v9, v48
	scratch_store_b32 off, v1, off offset:272 ; 4-byte Folded Spill
	v_dual_sub_f32 v33, v41, v28 :: v_dual_mul_f32 v10, v94, v63
	v_add_f32_e32 v32, v41, v28
	s_delay_alu instid0(VALU_DEP_2) | instskip(NEXT) | instid1(VALU_DEP_1)
	v_fmac_f32_e32 v10, v95, v62
	v_add_f32_e32 v29, v48, v10
	v_sub_f32_e32 v30, v48, v10
	v_dual_add_f32 v11, v11, v10 :: v_dual_add_f32 v10, v8, v41
	v_fma_f32 v8, -0.5, v32, v8
	s_delay_alu instid0(VALU_DEP_4) | instskip(SKIP_1) | instid1(VALU_DEP_4)
	v_fmac_f32_e32 v9, -0.5, v29
	v_mad_u64_u32 v[41:42], null, 0x50, v3, s[2:3]
	v_add_f32_e32 v10, v10, v28
	s_delay_alu instid0(VALU_DEP_4) | instskip(NEXT) | instid1(VALU_DEP_4)
	v_fmamk_f32 v28, v30, 0x3f5db3d7, v8
	v_dual_fmamk_f32 v29, v33, 0xbf5db3d7, v9 :: v_dual_fmac_f32 v8, 0xbf5db3d7, v30
	v_fmac_f32_e32 v9, 0x3f5db3d7, v33
	ds_store_2addr_b64 v1, v[10:11], v[28:29] offset1:17
	ds_store_b64 v1, v[8:9] offset:272
	s_waitcnt lgkmcnt(0)
	s_waitcnt_vscnt null, 0x0
	s_barrier
	buffer_gl0_inv
	s_clause 0x1
	global_load_b128 v[8:11], v[41:42], off offset:272
	global_load_b128 v[28:31], v[41:42], off offset:288
	ds_load_2addr_b64 v[32:35], v182 offset0:50 offset1:101
	s_waitcnt vmcnt(1) lgkmcnt(0)
	v_mul_f32_e32 v43, v33, v11
	v_mul_f32_e32 v87, v32, v11
	;; [unrolled: 1-line block ×3, first 2 shown]
	s_delay_alu instid0(VALU_DEP_3) | instskip(NEXT) | instid1(VALU_DEP_3)
	v_fma_f32 v86, v32, v10, -v43
	v_dual_mul_f32 v32, v35, v11 :: v_dual_fmac_f32 v87, v33, v10
	s_delay_alu instid0(VALU_DEP_3) | instskip(NEXT) | instid1(VALU_DEP_2)
	v_fmac_f32_e32 v121, v35, v10
	v_fma_f32 v122, v34, v10, -v32
	ds_load_2addr_b64 v[32:35], v169 offset0:100 offset1:151
	s_waitcnt vmcnt(0) lgkmcnt(0)
	v_mul_f32_e32 v43, v33, v31
	v_mul_f32_e32 v202, v32, v31
	;; [unrolled: 1-line block ×3, first 2 shown]
	s_delay_alu instid0(VALU_DEP_3) | instskip(SKIP_1) | instid1(VALU_DEP_4)
	v_fma_f32 v201, v32, v30, -v43
	v_mul_f32_e32 v32, v35, v31
	v_fmac_f32_e32 v202, v33, v30
	s_delay_alu instid0(VALU_DEP_4) | instskip(NEXT) | instid1(VALU_DEP_3)
	v_fmac_f32_e32 v119, v35, v30
	v_fma_f32 v120, v34, v30, -v32
	s_clause 0x2
	global_load_b128 v[32:35], v[41:42], off offset:304
	global_load_b128 v[52:55], v[41:42], off offset:320
	;; [unrolled: 1-line block ×3, first 2 shown]
	v_and_b32_e32 v94, 0xff, v40
	ds_load_2addr_b64 v[48:51], v180 offset0:150 offset1:201
	v_mad_u64_u32 v[88:89], null, 0x50, v94, s[2:3]
	global_load_b128 v[4:7], v[88:89], off offset:272
	s_waitcnt vmcnt(3) lgkmcnt(0)
	v_mul_f32_e32 v43, v49, v35
	v_mul_f32_e32 v210, v48, v35
	;; [unrolled: 1-line block ×3, first 2 shown]
	s_delay_alu instid0(VALU_DEP_3) | instskip(NEXT) | instid1(VALU_DEP_3)
	v_fma_f32 v209, v48, v34, -v43
	v_dual_fmac_f32 v210, v49, v34 :: v_dual_mul_f32 v43, v51, v35
	s_delay_alu instid0(VALU_DEP_3) | instskip(NEXT) | instid1(VALU_DEP_2)
	v_fmac_f32_e32 v123, v51, v34
	v_fma_f32 v125, v50, v34, -v43
	ds_load_2addr_b64 v[48:51], v170 offset0:200 offset1:251
	s_waitcnt vmcnt(0)
	scratch_store_b128 off, v[4:7], off offset:244 ; 16-byte Folded Spill
	s_waitcnt lgkmcnt(0)
	v_mul_f32_e32 v43, v49, v55
	v_mul_f32_e32 v212, v48, v55
	;; [unrolled: 1-line block ×3, first 2 shown]
	s_delay_alu instid0(VALU_DEP_3) | instskip(NEXT) | instid1(VALU_DEP_3)
	v_fma_f32 v211, v48, v54, -v43
	v_dual_fmac_f32 v212, v49, v54 :: v_dual_mul_f32 v43, v51, v55
	s_delay_alu instid0(VALU_DEP_3) | instskip(NEXT) | instid1(VALU_DEP_2)
	v_fmac_f32_e32 v126, v51, v54
	v_fma_f32 v127, v50, v54, -v43
	ds_load_2addr_b64 v[48:51], v171 offset0:122 offset1:173
	s_waitcnt lgkmcnt(0)
	v_mul_f32_e32 v56, v49, v67
	v_mul_f32_e32 v214, v48, v67
	;; [unrolled: 1-line block ×3, first 2 shown]
	v_lshlrev_b32_e32 v1, 3, v94
	s_delay_alu instid0(VALU_DEP_4) | instskip(SKIP_2) | instid1(VALU_DEP_4)
	v_fma_f32 v213, v48, v66, -v56
	v_mul_f32_e32 v48, v51, v67
	v_fmac_f32_e32 v214, v49, v66
	v_dual_fmac_f32 v133, v51, v66 :: v_dual_add_nc_u32 v94, 0x2000, v1
	s_delay_alu instid0(VALU_DEP_3)
	v_fma_f32 v132, v50, v66, -v48
	ds_load_2addr_b64 v[48:51], v244 offset0:204 offset1:255
	s_waitcnt lgkmcnt(0)
	v_mul_f32_e32 v56, v49, v9
	v_mul_f32_e32 v85, v48, v9
	;; [unrolled: 1-line block ×3, first 2 shown]
	s_delay_alu instid0(VALU_DEP_3) | instskip(NEXT) | instid1(VALU_DEP_3)
	v_fma_f32 v84, v48, v8, -v56
	v_dual_mul_f32 v48, v51, v5 :: v_dual_fmac_f32 v85, v49, v8
	s_delay_alu instid0(VALU_DEP_3) | instskip(NEXT) | instid1(VALU_DEP_2)
	v_fmac_f32_e32 v95, v51, v4
	v_fma_f32 v96, v50, v4, -v48
	ds_load_2addr_b64 v[48:51], v182 offset0:152 offset1:203
	s_waitcnt lgkmcnt(0)
	v_mul_f32_e32 v56, v51, v29
	v_dual_mul_f32 v216, v50, v29 :: v_dual_mul_f32 v97, v48, v7
	s_delay_alu instid0(VALU_DEP_2) | instskip(SKIP_1) | instid1(VALU_DEP_3)
	v_fma_f32 v215, v50, v28, -v56
	v_mul_f32_e32 v50, v49, v7
	v_dual_fmac_f32 v216, v51, v28 :: v_dual_fmac_f32 v97, v49, v6
	s_delay_alu instid0(VALU_DEP_2) | instskip(SKIP_4) | instid1(VALU_DEP_2)
	v_fma_f32 v98, v48, v6, -v50
	ds_load_2addr_b64 v[48:51], v172 offset0:126 offset1:177
	s_waitcnt lgkmcnt(0)
	v_mul_f32_e32 v56, v49, v29
	v_mul_f32_e32 v128, v48, v29
	v_fma_f32 v129, v48, v28, -v56
	s_clause 0x1
	global_load_b128 v[56:59], v[88:89], off offset:288
	global_load_b128 v[72:75], v[88:89], off offset:304
	v_fmac_f32_e32 v128, v49, v28
	s_waitcnt vmcnt(1)
	v_mul_f32_e32 v48, v51, v57
	v_mul_f32_e32 v104, v50, v57
	s_delay_alu instid0(VALU_DEP_2) | instskip(NEXT) | instid1(VALU_DEP_2)
	v_fma_f32 v106, v50, v56, -v48
	v_fmac_f32_e32 v104, v51, v56
	ds_load_2addr_b64 v[48:51], v169 offset0:202 offset1:253
	s_waitcnt lgkmcnt(0)
	v_mul_f32_e32 v80, v51, v33
	v_mul_f32_e32 v218, v50, v33
	;; [unrolled: 1-line block ×3, first 2 shown]
	s_delay_alu instid0(VALU_DEP_3) | instskip(SKIP_1) | instid1(VALU_DEP_4)
	v_fma_f32 v217, v50, v32, -v80
	v_mul_f32_e32 v50, v49, v59
	v_fmac_f32_e32 v218, v51, v32
	s_delay_alu instid0(VALU_DEP_4) | instskip(NEXT) | instid1(VALU_DEP_3)
	v_fmac_f32_e32 v102, v49, v58
	v_fma_f32 v105, v48, v58, -v50
	ds_load_2addr_b64 v[48:51], v180 offset0:48 offset1:99
	s_waitcnt lgkmcnt(0)
	v_mul_f32_e32 v80, v49, v33
	v_mul_f32_e32 v130, v48, v33
	s_waitcnt vmcnt(0)
	v_mul_f32_e32 v99, v50, v73
	s_delay_alu instid0(VALU_DEP_3) | instskip(SKIP_2) | instid1(VALU_DEP_4)
	v_fma_f32 v131, v48, v32, -v80
	v_mul_f32_e32 v48, v51, v73
	v_fmac_f32_e32 v130, v49, v32
	v_fmac_f32_e32 v99, v51, v72
	s_delay_alu instid0(VALU_DEP_3) | instskip(SKIP_4) | instid1(VALU_DEP_2)
	v_fma_f32 v103, v50, v72, -v48
	ds_load_2addr_b64 v[48:51], v181 offset0:124 offset1:175
	s_waitcnt lgkmcnt(0)
	v_mul_f32_e32 v80, v51, v53
	v_dual_mul_f32 v220, v50, v53 :: v_dual_mul_f32 v107, v48, v75
	v_fma_f32 v219, v50, v52, -v80
	v_mul_f32_e32 v50, v49, v75
	s_delay_alu instid0(VALU_DEP_3) | instskip(NEXT) | instid1(VALU_DEP_2)
	v_dual_fmac_f32 v220, v51, v52 :: v_dual_fmac_f32 v107, v49, v74
	v_fma_f32 v110, v48, v74, -v50
	ds_load_2addr_b64 v[48:51], v170 offset0:98 offset1:149
	s_waitcnt lgkmcnt(0)
	v_mul_f32_e32 v80, v49, v53
	s_delay_alu instid0(VALU_DEP_1)
	v_fma_f32 v135, v48, v52, -v80
	s_clause 0x1
	global_load_b128 v[80:83], v[88:89], off offset:320
	global_load_b128 v[88:91], v[88:89], off offset:336
	ds_load_2addr_b64 v[173:176], v244 offset1:51
	v_add_f32_e32 v162, v85, v133
	v_mul_f32_e32 v134, v48, v53
	scratch_store_b128 off, v[8:11], off offset:276 ; 16-byte Folded Spill
	v_fmac_f32_e32 v134, v49, v52
	s_waitcnt vmcnt(1)
	v_mul_f32_e32 v48, v51, v81
	v_mul_f32_e32 v111, v50, v81
	s_delay_alu instid0(VALU_DEP_2) | instskip(NEXT) | instid1(VALU_DEP_2)
	v_fma_f32 v112, v50, v80, -v48
	v_fmac_f32_e32 v111, v51, v80
	ds_load_2addr_b64 v[48:51], v179 offset0:46 offset1:97
	s_waitcnt lgkmcnt(0)
	v_mul_f32_e32 v113, v51, v65
	v_mul_f32_e32 v222, v50, v65
	s_delay_alu instid0(VALU_DEP_2) | instskip(SKIP_1) | instid1(VALU_DEP_3)
	v_fma_f32 v221, v50, v64, -v113
	v_mul_f32_e32 v50, v49, v83
	v_dual_mul_f32 v113, v48, v83 :: v_dual_fmac_f32 v222, v51, v64
	s_delay_alu instid0(VALU_DEP_2) | instskip(NEXT) | instid1(VALU_DEP_2)
	v_fma_f32 v114, v48, v82, -v50
	v_fmac_f32_e32 v113, v49, v82
	ds_load_2addr_b64 v[48:51], v179 offset0:148 offset1:199
	s_waitcnt lgkmcnt(0)
	v_mul_f32_e32 v115, v49, v65
	v_mul_f32_e32 v136, v48, v65
	s_delay_alu instid0(VALU_DEP_2) | instskip(SKIP_2) | instid1(VALU_DEP_3)
	v_fma_f32 v137, v48, v64, -v115
	s_waitcnt vmcnt(0)
	v_mul_f32_e32 v48, v51, v89
	v_dual_mul_f32 v115, v50, v89 :: v_dual_fmac_f32 v136, v49, v64
	s_delay_alu instid0(VALU_DEP_2) | instskip(NEXT) | instid1(VALU_DEP_2)
	v_fma_f32 v118, v50, v88, -v48
	v_fmac_f32_e32 v115, v51, v88
	ds_load_2addr_b64 v[48:51], v244 offset0:102 offset1:153
	s_waitcnt lgkmcnt(0)
	v_mul_f32_e32 v138, v50, v9
	s_delay_alu instid0(VALU_DEP_1) | instskip(SKIP_1) | instid1(VALU_DEP_2)
	v_fmac_f32_e32 v138, v51, v8
	v_mul_f32_e32 v51, v51, v9
	v_add_f32_e32 v153, v138, v214
	s_delay_alu instid0(VALU_DEP_2) | instskip(SKIP_1) | instid1(VALU_DEP_1)
	v_fma_f32 v50, v50, v8, -v51
	v_sub_f32_e32 v51, v138, v214
	v_dual_add_f32 v148, v50, v213 :: v_dual_mul_f32 v139, 0xbf4178ce, v51
	v_mul_f32_e32 v142, 0xbf0a6770, v51
	v_mul_f32_e32 v141, 0xbf68dda4, v51
	;; [unrolled: 1-line block ×4, first 2 shown]
	v_fma_f32 v146, 0xbf27a4f4, v148, -v139
	v_fmac_f32_e32 v139, 0xbf27a4f4, v148
	s_delay_alu instid0(VALU_DEP_2) | instskip(NEXT) | instid1(VALU_DEP_2)
	v_add_f32_e32 v197, v173, v146
	v_add_f32_e32 v193, v173, v139
	v_fma_f32 v143, 0x3f575c64, v148, -v142
	v_fmac_f32_e32 v142, 0x3f575c64, v148
	v_fma_f32 v144, 0x3ed4b147, v148, -v141
	v_fmac_f32_e32 v141, 0x3ed4b147, v148
	v_fma_f32 v145, 0xbe11bafb, v148, -v140
	v_fmac_f32_e32 v140, 0xbe11bafb, v148
	v_fma_f32 v147, 0xbf75a155, v148, -v51
	v_dual_fmac_f32 v51, 0xbf75a155, v148 :: v_dual_sub_f32 v148, v50, v213
	v_add_f32_e32 v50, v173, v50
	v_add_f32_e32 v165, v173, v141
	s_delay_alu instid0(VALU_DEP_4) | instskip(NEXT) | instid1(VALU_DEP_4)
	v_add_f32_e32 v195, v173, v147
	v_add_f32_e32 v191, v173, v51
	v_mul_f32_e32 v149, 0xbf0a6770, v148
	v_mul_f32_e32 v150, 0xbf68dda4, v148
	;; [unrolled: 1-line block ×5, first 2 shown]
	v_fmamk_f32 v154, v153, 0x3f575c64, v149
	v_fma_f32 v149, 0x3f575c64, v153, -v149
	v_fmamk_f32 v155, v153, 0x3ed4b147, v150
	v_fma_f32 v150, 0x3ed4b147, v153, -v150
	;; [unrolled: 2-line block ×5, first 2 shown]
	v_sub_f32_e32 v153, v85, v133
	v_add_f32_e32 v247, v174, v155
	v_add_f32_e32 v163, v173, v140
	;; [unrolled: 1-line block ×3, first 2 shown]
	s_delay_alu instid0(VALU_DEP_4)
	v_dual_add_f32 v164, v174, v150 :: v_dual_mul_f32 v167, 0xbf0a6770, v153
	v_mul_f32_e32 v168, 0xbf68dda4, v153
	v_mul_f32_e32 v177, 0xbf7d64f0, v153
	;; [unrolled: 1-line block ×4, first 2 shown]
	v_dual_add_f32 v153, v84, v132 :: v_dual_add_f32 v196, v174, v157
	v_add_f32_e32 v208, v173, v144
	v_add_f32_e32 v250, v173, v145
	;; [unrolled: 1-line block ×3, first 2 shown]
	s_delay_alu instid0(VALU_DEP_4)
	v_fma_f32 v184, 0x3f575c64, v153, -v167
	v_fmac_f32_e32 v167, 0x3f575c64, v153
	v_fma_f32 v185, 0x3ed4b147, v153, -v168
	v_fma_f32 v186, 0xbe11bafb, v153, -v177
	v_fmac_f32_e32 v168, 0x3ed4b147, v153
	v_fmac_f32_e32 v177, 0xbe11bafb, v153
	v_fma_f32 v187, 0xbf27a4f4, v153, -v178
	v_fmac_f32_e32 v178, 0xbf27a4f4, v153
	v_fma_f32 v188, 0xbf75a155, v153, -v183
	v_fmac_f32_e32 v183, 0xbf75a155, v153
	v_sub_f32_e32 v153, v84, v132
	v_add_f32_e32 v157, v175, v184
	v_add_f32_e32 v141, v175, v167
	;; [unrolled: 1-line block ×3, first 2 shown]
	s_delay_alu instid0(VALU_DEP_4)
	v_dual_add_f32 v147, v175, v183 :: v_dual_mul_f32 v158, 0xbf0a6770, v153
	v_mul_f32_e32 v160, 0xbf7d64f0, v153
	v_mul_f32_e32 v161, 0xbf4178ce, v153
	;; [unrolled: 1-line block ×4, first 2 shown]
	v_fma_f32 v198, 0x3f575c64, v162, -v158
	v_fmamk_f32 v189, v162, 0x3f575c64, v158
	v_fmamk_f32 v252, v162, 0xbf27a4f4, v161
	v_fma_f32 v253, 0xbf27a4f4, v162, -v161
	v_add_f32_e32 v161, v174, v149
	v_add_f32_e32 v149, v175, v188
	v_dual_fmamk_f32 v245, v162, 0xbe11bafb, v160 :: v_dual_add_f32 v140, v176, v198
	v_add_f32_e32 v188, v218, v210
	v_dual_sub_f32 v198, v87, v222 :: v_dual_fmamk_f32 v207, v162, 0x3ed4b147, v159
	s_delay_alu instid0(VALU_DEP_3)
	v_dual_add_f32 v152, v176, v245 :: v_dual_sub_f32 v245, v201, v219
	v_fma_f32 v223, 0x3ed4b147, v162, -v159
	v_fma_f32 v249, 0xbe11bafb, v162, -v160
	v_dual_fmamk_f32 v254, v162, 0xbf75a155, v153 :: v_dual_add_f32 v145, v175, v177
	v_fma_f32 v255, 0xbf75a155, v162, -v153
	v_dual_add_f32 v162, v174, v151 :: v_dual_mul_f32 v185, 0xbf4178ce, v245
	v_dual_add_f32 v150, v176, v252 :: v_dual_add_f32 v167, v86, v221
	v_sub_f32_e32 v252, v86, v221
	v_add_f32_e32 v184, v202, v220
	v_add_f32_e32 v194, v174, v166
	v_mul_f32_e32 v166, 0xbf68dda4, v198
	v_add_f32_e32 v50, v50, v86
	v_add_f32_e32 v158, v175, v84
	;; [unrolled: 1-line block ×4, first 2 shown]
	v_dual_add_f32 v153, v175, v186 :: v_dual_add_f32 v142, v176, v253
	v_add_f32_e32 v148, v176, v254
	v_fma_f32 v51, 0x3ed4b147, v167, -v166
	v_dual_mul_f32 v173, 0xbf68dda4, v252 :: v_dual_add_f32 v224, v174, v138
	v_add_f32_e32 v138, v175, v168
	v_dual_add_f32 v168, v87, v222 :: v_dual_sub_f32 v253, v216, v212
	v_sub_f32_e32 v254, v215, v211
	v_dual_add_f32 v50, v50, v215 :: v_dual_add_f32 v159, v176, v85
	v_add_f32_e32 v85, v174, v154
	v_add_f32_e32 v151, v175, v187
	;; [unrolled: 1-line block ×3, first 2 shown]
	v_dual_add_f32 v51, v51, v84 :: v_dual_fmamk_f32 v84, v168, 0x3ed4b147, v173
	v_add_f32_e32 v175, v215, v211
	v_add_f32_e32 v177, v216, v212
	v_dual_mul_f32 v183, 0xbf7d64f0, v254 :: v_dual_add_f32 v248, v174, v156
	v_mul_f32_e32 v174, 0xbf7d64f0, v253
	v_add_f32_e32 v50, v50, v201
	v_add_f32_e32 v156, v176, v189
	;; [unrolled: 1-line block ×4, first 2 shown]
	v_fma_f32 v85, 0xbe11bafb, v175, -v174
	v_sub_f32_e32 v255, v202, v220
	v_add_f32_e32 v50, v50, v217
	v_add_f32_e32 v154, v176, v207
	;; [unrolled: 1-line block ×3, first 2 shown]
	v_dual_add_f32 v144, v176, v249 :: v_dual_add_f32 v51, v85, v51
	v_fmamk_f32 v85, v177, 0xbe11bafb, v183
	v_add_f32_e32 v178, v201, v219
	v_dual_mul_f32 v176, 0xbf4178ce, v255 :: v_dual_sub_f32 v207, v217, v209
	v_add_f32_e32 v50, v50, v209
	s_delay_alu instid0(VALU_DEP_4) | instskip(NEXT) | instid1(VALU_DEP_3)
	v_dual_add_f32 v84, v85, v84 :: v_dual_sub_f32 v249, v218, v210
	v_fma_f32 v85, 0xbf27a4f4, v178, -v176
	s_delay_alu instid0(VALU_DEP_3) | instskip(NEXT) | instid1(VALU_DEP_3)
	v_dual_add_f32 v187, v217, v209 :: v_dual_add_f32 v50, v50, v219
	v_dual_mul_f32 v189, 0xbe903f40, v207 :: v_dual_mul_f32 v186, 0xbe903f40, v249
	s_delay_alu instid0(VALU_DEP_3) | instskip(NEXT) | instid1(VALU_DEP_3)
	v_add_f32_e32 v51, v85, v51
	v_dual_mul_f32 v225, 0xbe903f40, v245 :: v_dual_add_f32 v50, v50, v211
	v_mul_f32_e32 v211, 0x3f7d64f0, v245
	s_delay_alu instid0(VALU_DEP_2) | instskip(NEXT) | instid1(VALU_DEP_1)
	v_dual_fmamk_f32 v85, v184, 0xbf27a4f4, v185 :: v_dual_add_f32 v50, v50, v221
	v_add_f32_e32 v85, v85, v84
	v_fma_f32 v84, 0xbf75a155, v187, -v186
	s_delay_alu instid0(VALU_DEP_3) | instskip(NEXT) | instid1(VALU_DEP_2)
	v_dual_add_f32 v86, v50, v213 :: v_dual_mul_f32 v213, 0x3f0a6770, v207
	v_add_f32_e32 v84, v84, v51
	v_fmamk_f32 v51, v188, 0xbf75a155, v189
	v_mul_f32_e32 v201, 0xbf4178ce, v198
	v_mul_f32_e32 v209, 0x3e903f40, v254
	v_mul_f32_e32 v223, 0xbf0a6770, v254
	s_delay_alu instid0(VALU_DEP_4) | instskip(SKIP_2) | instid1(VALU_DEP_2)
	v_add_f32_e32 v85, v51, v85
	v_add_f32_e32 v51, v224, v87
	v_mul_f32_e32 v224, 0xbe903f40, v255
	v_dual_fmac_f32 v166, 0x3ed4b147, v167 :: v_dual_add_f32 v51, v51, v216
	s_delay_alu instid0(VALU_DEP_1) | instskip(NEXT) | instid1(VALU_DEP_1)
	v_dual_mul_f32 v216, 0x3f68dda4, v253 :: v_dual_add_f32 v51, v51, v202
	v_fma_f32 v217, 0x3ed4b147, v175, -v216
	s_delay_alu instid0(VALU_DEP_2) | instskip(NEXT) | instid1(VALU_DEP_1)
	v_add_f32_e32 v51, v51, v218
	v_dual_add_f32 v51, v51, v210 :: v_dual_mul_f32 v202, 0xbf4178ce, v252
	v_mul_f32_e32 v210, 0x3f7d64f0, v255
	v_mul_f32_e32 v215, 0x3e903f40, v252
	s_delay_alu instid0(VALU_DEP_3) | instskip(NEXT) | instid1(VALU_DEP_1)
	v_add_f32_e32 v51, v51, v220
	v_dual_add_f32 v51, v51, v212 :: v_dual_mul_f32 v212, 0x3f0a6770, v249
	s_delay_alu instid0(VALU_DEP_1) | instskip(NEXT) | instid1(VALU_DEP_1)
	v_add_f32_e32 v51, v51, v222
	v_add_f32_e32 v87, v51, v214
	ds_load_b64 v[50:51], v244 offset:13056
	s_waitcnt lgkmcnt(0)
	s_waitcnt_vscnt null, 0x0
	s_barrier
	buffer_gl0_inv
	ds_store_2addr_b64 v244, v[86:87], v[84:85] offset1:51
	v_fma_f32 v84, 0xbf27a4f4, v167, -v201
	v_fmamk_f32 v85, v168, 0xbf27a4f4, v202
	v_mul_f32_e32 v214, 0x3e903f40, v198
	v_fmac_f32_e32 v201, 0xbf27a4f4, v167
	v_fmac_f32_e32 v174, 0xbe11bafb, v175
	v_add_f32_e32 v84, v84, v208
	v_dual_mul_f32 v208, 0x3e903f40, v253 :: v_dual_add_f32 v85, v85, v247
	v_fmamk_f32 v87, v168, 0xbf75a155, v215
	v_mul_f32_e32 v247, 0x3f68dda4, v249
	s_clause 0x1
	scratch_store_b32 off, v1, off offset:228
	scratch_store_b32 off, v0, off offset:292
	v_fma_f32 v86, 0xbf75a155, v175, -v208
	v_dual_add_f32 v87, v87, v248 :: v_dual_mul_f32 v248, 0x3f68dda4, v207
	s_delay_alu instid0(VALU_DEP_2) | instskip(SKIP_1) | instid1(VALU_DEP_1)
	v_add_f32_e32 v84, v86, v84
	v_fmamk_f32 v86, v177, 0xbf75a155, v209
	v_add_f32_e32 v85, v86, v85
	v_fma_f32 v86, 0xbe11bafb, v178, -v210
	v_fmac_f32_e32 v176, 0xbf27a4f4, v178
	s_delay_alu instid0(VALU_DEP_2) | instskip(SKIP_1) | instid1(VALU_DEP_1)
	v_add_f32_e32 v84, v86, v84
	v_fmamk_f32 v86, v184, 0xbe11bafb, v211
	v_add_f32_e32 v85, v86, v85
	v_fma_f32 v86, 0x3f575c64, v187, -v212
	s_delay_alu instid0(VALU_DEP_1) | instskip(SKIP_1) | instid1(VALU_DEP_1)
	v_add_f32_e32 v84, v86, v84
	v_fmamk_f32 v86, v188, 0x3f575c64, v213
	v_add_f32_e32 v85, v86, v85
	v_fma_f32 v86, 0xbf75a155, v167, -v214
	s_delay_alu instid0(VALU_DEP_1) | instskip(NEXT) | instid1(VALU_DEP_1)
	v_add_f32_e32 v86, v86, v250
	v_add_f32_e32 v86, v217, v86
	v_mul_f32_e32 v217, 0x3f68dda4, v254
	s_delay_alu instid0(VALU_DEP_1) | instskip(NEXT) | instid1(VALU_DEP_1)
	v_fmamk_f32 v218, v177, 0x3ed4b147, v217
	v_add_f32_e32 v87, v218, v87
	v_mul_f32_e32 v218, 0xbf0a6770, v255
	s_delay_alu instid0(VALU_DEP_1) | instskip(NEXT) | instid1(VALU_DEP_1)
	v_fma_f32 v219, 0x3f575c64, v178, -v218
	v_dual_add_f32 v86, v219, v86 :: v_dual_mul_f32 v219, 0xbf0a6770, v245
	v_mul_f32_e32 v245, 0x3f68dda4, v245
	s_delay_alu instid0(VALU_DEP_2) | instskip(NEXT) | instid1(VALU_DEP_1)
	v_fmamk_f32 v220, v184, 0x3f575c64, v219
	v_dual_add_f32 v87, v220, v87 :: v_dual_mul_f32 v220, 0xbf4178ce, v249
	v_mul_f32_e32 v249, 0xbf7d64f0, v249
	s_delay_alu instid0(VALU_DEP_2) | instskip(NEXT) | instid1(VALU_DEP_1)
	v_fma_f32 v221, 0xbf27a4f4, v187, -v220
	v_dual_add_f32 v86, v221, v86 :: v_dual_mul_f32 v221, 0xbf4178ce, v207
	v_mul_f32_e32 v207, 0xbf7d64f0, v207
	s_delay_alu instid0(VALU_DEP_2) | instskip(NEXT) | instid1(VALU_DEP_1)
	v_fmamk_f32 v222, v188, 0xbf27a4f4, v221
	v_dual_add_f32 v87, v222, v87 :: v_dual_mul_f32 v222, 0x3f7d64f0, v198
	v_mul_f32_e32 v198, 0x3f0a6770, v198
	v_fmac_f32_e32 v208, 0xbf75a155, v175
	ds_store_2addr_b64 v244, v[84:85], v[86:87] offset0:102 offset1:153
	v_fma_f32 v84, 0xbe11bafb, v167, -v222
	s_delay_alu instid0(VALU_DEP_1) | instskip(NEXT) | instid1(VALU_DEP_1)
	v_dual_add_f32 v84, v84, v197 :: v_dual_mul_f32 v197, 0x3f7d64f0, v252
	v_fmamk_f32 v85, v168, 0xbe11bafb, v197
	s_delay_alu instid0(VALU_DEP_1) | instskip(NEXT) | instid1(VALU_DEP_1)
	v_dual_add_f32 v85, v85, v196 :: v_dual_mul_f32 v196, 0xbf0a6770, v253
	v_fma_f32 v86, 0x3f575c64, v175, -v196
	s_delay_alu instid0(VALU_DEP_1) | instskip(SKIP_1) | instid1(VALU_DEP_1)
	v_add_f32_e32 v84, v86, v84
	v_fmamk_f32 v86, v177, 0x3f575c64, v223
	v_add_f32_e32 v85, v86, v85
	v_fma_f32 v86, 0xbf75a155, v178, -v224
	v_fmac_f32_e32 v224, 0xbf75a155, v178
	v_fmac_f32_e32 v210, 0xbe11bafb, v178
	s_delay_alu instid0(VALU_DEP_3) | instskip(SKIP_1) | instid1(VALU_DEP_1)
	v_add_f32_e32 v84, v86, v84
	v_fmamk_f32 v86, v184, 0xbf75a155, v225
	v_add_f32_e32 v85, v86, v85
	v_fma_f32 v86, 0x3ed4b147, v187, -v247
	v_fmac_f32_e32 v247, 0x3ed4b147, v187
	v_fmac_f32_e32 v214, 0xbf75a155, v167
	s_delay_alu instid0(VALU_DEP_3) | instskip(SKIP_1) | instid1(VALU_DEP_1)
	v_add_f32_e32 v84, v86, v84
	v_fmamk_f32 v86, v188, 0x3ed4b147, v248
	v_add_f32_e32 v85, v86, v85
	v_fma_f32 v86, 0x3f575c64, v167, -v198
	v_fmac_f32_e32 v198, 0x3f575c64, v167
	s_delay_alu instid0(VALU_DEP_2) | instskip(NEXT) | instid1(VALU_DEP_1)
	v_dual_add_f32 v86, v86, v195 :: v_dual_mul_f32 v195, 0x3f0a6770, v252
	v_dual_fmac_f32 v212, 0x3f575c64, v187 :: v_dual_fmamk_f32 v87, v168, 0x3f575c64, v195
	s_delay_alu instid0(VALU_DEP_1) | instskip(NEXT) | instid1(VALU_DEP_1)
	v_dual_add_f32 v87, v87, v194 :: v_dual_mul_f32 v194, 0xbf4178ce, v253
	v_fma_f32 v250, 0xbf27a4f4, v175, -v194
	v_fmac_f32_e32 v194, 0xbf27a4f4, v175
	s_delay_alu instid0(VALU_DEP_2) | instskip(SKIP_1) | instid1(VALU_DEP_1)
	v_add_f32_e32 v86, v250, v86
	v_mul_f32_e32 v250, 0xbf4178ce, v254
	v_fmamk_f32 v252, v177, 0xbf27a4f4, v250
	s_delay_alu instid0(VALU_DEP_1) | instskip(SKIP_2) | instid1(VALU_DEP_2)
	v_add_f32_e32 v87, v252, v87
	v_mul_f32_e32 v252, 0x3f68dda4, v255
	v_fmac_f32_e32 v216, 0x3ed4b147, v175
	v_fma_f32 v253, 0x3ed4b147, v178, -v252
	v_fmac_f32_e32 v252, 0x3ed4b147, v178
	s_delay_alu instid0(VALU_DEP_2) | instskip(NEXT) | instid1(VALU_DEP_1)
	v_dual_add_f32 v86, v253, v86 :: v_dual_fmamk_f32 v253, v184, 0x3ed4b147, v245
	v_add_f32_e32 v87, v253, v87
	v_fma_f32 v253, 0xbe11bafb, v187, -v249
	s_delay_alu instid0(VALU_DEP_1) | instskip(SKIP_1) | instid1(VALU_DEP_1)
	v_dual_fmac_f32 v249, 0xbe11bafb, v187 :: v_dual_add_f32 v86, v253, v86
	v_fmamk_f32 v253, v188, 0xbe11bafb, v207
	v_add_f32_e32 v87, v253, v87
	ds_store_2addr_b64 v244, v[84:85], v[86:87] offset0:204 offset1:255
	v_fma_f32 v85, 0xbe11bafb, v168, -v197
	v_fma_f32 v86, 0x3f575c64, v177, -v223
	;; [unrolled: 1-line block ×3, first 2 shown]
	s_delay_alu instid0(VALU_DEP_3) | instskip(NEXT) | instid1(VALU_DEP_2)
	v_dual_add_f32 v85, v85, v192 :: v_dual_fmac_f32 v218, 0x3f575c64, v178
	v_add_f32_e32 v87, v87, v190
	v_fma_f32 v190, 0xbf27a4f4, v177, -v250
	s_delay_alu instid0(VALU_DEP_3) | instskip(SKIP_1) | instid1(VALU_DEP_3)
	v_dual_fmac_f32 v220, 0xbf27a4f4, v187 :: v_dual_add_f32 v85, v86, v85
	v_fma_f32 v86, 0xbf75a155, v184, -v225
	v_add_f32_e32 v87, v190, v87
	v_fmac_f32_e32 v196, 0x3f575c64, v175
	v_fma_f32 v190, 0x3ed4b147, v184, -v245
	s_delay_alu instid0(VALU_DEP_4) | instskip(SKIP_1) | instid1(VALU_DEP_3)
	v_add_f32_e32 v85, v86, v85
	v_fma_f32 v86, 0x3ed4b147, v188, -v248
	v_add_f32_e32 v87, v190, v87
	v_fma_f32 v190, 0xbe11bafb, v188, -v207
	s_delay_alu instid0(VALU_DEP_3) | instskip(SKIP_1) | instid1(VALU_DEP_3)
	v_dual_add_f32 v85, v86, v85 :: v_dual_fmac_f32 v222, 0xbe11bafb, v167
	v_add_f32_e32 v86, v198, v191
	v_add_f32_e32 v87, v190, v87
	s_delay_alu instid0(VALU_DEP_3) | instskip(NEXT) | instid1(VALU_DEP_3)
	v_add_f32_e32 v84, v222, v193
	v_add_f32_e32 v86, v194, v86
	s_delay_alu instid0(VALU_DEP_2) | instskip(NEXT) | instid1(VALU_DEP_2)
	v_add_f32_e32 v84, v196, v84
	v_add_f32_e32 v86, v252, v86
	s_delay_alu instid0(VALU_DEP_2) | instskip(NEXT) | instid1(VALU_DEP_2)
	v_add_f32_e32 v84, v224, v84
	v_add_f32_e32 v86, v249, v86
	s_delay_alu instid0(VALU_DEP_2)
	v_add_f32_e32 v84, v247, v84
	ds_store_2addr_b64 v182, v[86:87], v[84:85] offset0:50 offset1:101
	v_fma_f32 v85, 0xbf27a4f4, v168, -v202
	v_fma_f32 v86, 0xbf75a155, v177, -v209
	;; [unrolled: 1-line block ×3, first 2 shown]
	v_add_f32_e32 v84, v201, v165
	s_delay_alu instid0(VALU_DEP_4) | instskip(NEXT) | instid1(VALU_DEP_3)
	v_add_f32_e32 v85, v85, v164
	v_add_f32_e32 v87, v87, v162
	v_fma_f32 v162, 0x3ed4b147, v177, -v217
	s_delay_alu instid0(VALU_DEP_3) | instskip(SKIP_1) | instid1(VALU_DEP_3)
	v_dual_add_f32 v84, v208, v84 :: v_dual_add_f32 v85, v86, v85
	v_fma_f32 v86, 0xbe11bafb, v184, -v211
	v_add_f32_e32 v87, v162, v87
	v_fma_f32 v162, 0x3f575c64, v184, -v219
	s_delay_alu instid0(VALU_DEP_4) | instskip(NEXT) | instid1(VALU_DEP_4)
	v_add_f32_e32 v84, v210, v84
	v_add_f32_e32 v85, v86, v85
	v_fma_f32 v86, 0x3f575c64, v188, -v213
	s_delay_alu instid0(VALU_DEP_4) | instskip(SKIP_1) | instid1(VALU_DEP_3)
	v_add_f32_e32 v87, v162, v87
	v_fma_f32 v162, 0xbf27a4f4, v188, -v221
	v_dual_add_f32 v84, v212, v84 :: v_dual_add_f32 v85, v86, v85
	v_add_f32_e32 v86, v214, v163
	s_delay_alu instid0(VALU_DEP_1) | instskip(NEXT) | instid1(VALU_DEP_1)
	v_dual_add_f32 v87, v162, v87 :: v_dual_add_f32 v86, v216, v86
	v_add_f32_e32 v86, v218, v86
	s_delay_alu instid0(VALU_DEP_1)
	v_add_f32_e32 v86, v220, v86
	ds_store_2addr_b64 v182, v[86:87], v[84:85] offset0:152 offset1:203
	v_fma_f32 v84, 0x3ed4b147, v168, -v173
	v_fma_f32 v85, 0xbe11bafb, v177, -v183
	;; [unrolled: 1-line block ×3, first 2 shown]
	v_add_f32_e32 v86, v166, v160
	v_add_f32_e32 v160, v131, v125
	;; [unrolled: 1-line block ×3, first 2 shown]
	s_delay_alu instid0(VALU_DEP_3) | instskip(NEXT) | instid1(VALU_DEP_2)
	v_add_f32_e32 v86, v174, v86
	v_add_f32_e32 v84, v85, v84
	v_fma_f32 v85, 0xbf27a4f4, v184, -v185
	s_delay_alu instid0(VALU_DEP_1) | instskip(NEXT) | instid1(VALU_DEP_1)
	v_dual_add_f32 v86, v176, v86 :: v_dual_add_f32 v85, v85, v84
	v_add_f32_e32 v85, v87, v85
	v_add_f32_e32 v87, v159, v121
	s_delay_alu instid0(VALU_DEP_1) | instskip(NEXT) | instid1(VALU_DEP_1)
	v_add_f32_e32 v87, v87, v128
	v_add_f32_e32 v87, v87, v119
	s_delay_alu instid0(VALU_DEP_1) | instskip(NEXT) | instid1(VALU_DEP_1)
	;; [unrolled: 3-line block ×4, first 2 shown]
	v_add_f32_e32 v87, v87, v136
	v_add_f32_e32 v87, v87, v133
	v_sub_f32_e32 v133, v121, v136
	v_dual_add_f32 v121, v121, v136 :: v_dual_fmac_f32 v186, 0xbf75a155, v187
	s_delay_alu instid0(VALU_DEP_2) | instskip(SKIP_1) | instid1(VALU_DEP_3)
	v_mul_f32_e32 v136, 0xbf68dda4, v133
	v_mul_f32_e32 v162, 0xbf4178ce, v133
	v_add_f32_e32 v84, v186, v86
	v_add_f32_e32 v86, v158, v122
	;; [unrolled: 1-line block ×3, first 2 shown]
	v_mul_f32_e32 v178, 0x3f7d64f0, v133
	s_delay_alu instid0(VALU_DEP_3) | instskip(NEXT) | instid1(VALU_DEP_1)
	v_add_f32_e32 v86, v86, v129
	v_add_f32_e32 v86, v86, v120
	v_sub_f32_e32 v120, v120, v135
	s_delay_alu instid0(VALU_DEP_1) | instskip(NEXT) | instid1(VALU_DEP_1)
	v_dual_add_f32 v86, v86, v131 :: v_dual_mul_f32 v159, 0xbf4178ce, v120
	v_dual_mul_f32 v175, 0xbf0a6770, v120 :: v_dual_add_f32 v86, v86, v125
	v_sub_f32_e32 v125, v131, v125
	v_sub_f32_e32 v131, v130, v123
	v_add_f32_e32 v123, v130, v123
	s_delay_alu instid0(VALU_DEP_4) | instskip(NEXT) | instid1(VALU_DEP_3)
	v_dual_add_f32 v86, v86, v135 :: v_dual_sub_f32 v135, v119, v134
	v_dual_add_f32 v119, v119, v134 :: v_dual_mul_f32 v130, 0xbe903f40, v131
	s_delay_alu instid0(VALU_DEP_2) | instskip(NEXT) | instid1(VALU_DEP_3)
	v_dual_mul_f32 v161, 0xbe903f40, v125 :: v_dual_add_f32 v86, v86, v127
	v_mul_f32_e32 v134, 0xbf4178ce, v135
	v_mul_f32_e32 v174, 0xbf0a6770, v135
	v_dual_mul_f32 v176, 0xbf4178ce, v131 :: v_dual_mul_f32 v177, 0xbf4178ce, v125
	s_delay_alu instid0(VALU_DEP_4) | instskip(NEXT) | instid1(VALU_DEP_1)
	v_add_f32_e32 v86, v86, v137
	v_add_f32_e32 v86, v86, v132
	;; [unrolled: 1-line block ×3, first 2 shown]
	v_sub_f32_e32 v122, v122, v137
	ds_store_2addr_b64 v172, v[84:85], v[86:87] offset0:126 offset1:177
	v_fma_f32 v84, 0x3ed4b147, v132, -v136
	s_delay_alu instid0(VALU_DEP_1) | instskip(NEXT) | instid1(VALU_DEP_1)
	v_dual_mul_f32 v137, 0xbf68dda4, v122 :: v_dual_add_f32 v84, v84, v157
	v_fmamk_f32 v85, v121, 0x3ed4b147, v137
	s_delay_alu instid0(VALU_DEP_1) | instskip(SKIP_3) | instid1(VALU_DEP_3)
	v_add_f32_e32 v85, v85, v156
	v_sub_f32_e32 v156, v129, v127
	v_add_f32_e32 v127, v129, v127
	v_sub_f32_e32 v129, v128, v126
	v_dual_add_f32 v126, v128, v126 :: v_dual_mul_f32 v157, 0xbf7d64f0, v156
	v_mul_f32_e32 v173, 0x3f68dda4, v156
	s_delay_alu instid0(VALU_DEP_3) | instskip(NEXT) | instid1(VALU_DEP_1)
	v_mul_f32_e32 v128, 0xbf7d64f0, v129
	v_fma_f32 v86, 0xbe11bafb, v127, -v128
	s_delay_alu instid0(VALU_DEP_1) | instskip(SKIP_1) | instid1(VALU_DEP_1)
	v_add_f32_e32 v84, v86, v84
	v_fmamk_f32 v86, v126, 0xbe11bafb, v157
	v_add_f32_e32 v85, v86, v85
	v_fma_f32 v86, 0xbf27a4f4, v158, -v134
	s_delay_alu instid0(VALU_DEP_1) | instskip(SKIP_1) | instid1(VALU_DEP_1)
	v_add_f32_e32 v84, v86, v84
	v_fmamk_f32 v86, v119, 0xbf27a4f4, v159
	v_add_f32_e32 v85, v86, v85
	;; [unrolled: 5-line block ×3, first 2 shown]
	v_fma_f32 v86, 0xbf27a4f4, v132, -v162
	s_delay_alu instid0(VALU_DEP_1) | instskip(NEXT) | instid1(VALU_DEP_1)
	v_dual_add_f32 v86, v86, v155 :: v_dual_mul_f32 v155, 0xbf4178ce, v122
	v_fmamk_f32 v87, v121, 0xbf27a4f4, v155
	s_delay_alu instid0(VALU_DEP_1) | instskip(NEXT) | instid1(VALU_DEP_1)
	v_dual_add_f32 v87, v87, v154 :: v_dual_mul_f32 v154, 0x3e903f40, v129
	v_fma_f32 v163, 0xbf75a155, v127, -v154
	s_delay_alu instid0(VALU_DEP_1) | instskip(NEXT) | instid1(VALU_DEP_1)
	v_dual_add_f32 v86, v163, v86 :: v_dual_mul_f32 v163, 0x3e903f40, v156
	v_fmamk_f32 v164, v126, 0xbf75a155, v163
	s_delay_alu instid0(VALU_DEP_1) | instskip(SKIP_1) | instid1(VALU_DEP_1)
	v_add_f32_e32 v87, v164, v87
	v_mul_f32_e32 v164, 0x3f7d64f0, v135
	v_fma_f32 v165, 0xbe11bafb, v158, -v164
	s_delay_alu instid0(VALU_DEP_1) | instskip(NEXT) | instid1(VALU_DEP_1)
	v_dual_add_f32 v86, v165, v86 :: v_dual_mul_f32 v165, 0x3f7d64f0, v120
	v_fmamk_f32 v166, v119, 0xbe11bafb, v165
	s_delay_alu instid0(VALU_DEP_1) | instskip(SKIP_1) | instid1(VALU_DEP_1)
	v_add_f32_e32 v87, v166, v87
	v_mul_f32_e32 v166, 0x3f0a6770, v131
	v_fma_f32 v167, 0x3f575c64, v160, -v166
	s_delay_alu instid0(VALU_DEP_1) | instskip(NEXT) | instid1(VALU_DEP_1)
	v_dual_add_f32 v86, v167, v86 :: v_dual_mul_f32 v167, 0x3f0a6770, v125
	v_fmamk_f32 v168, v123, 0x3f575c64, v167
	s_delay_alu instid0(VALU_DEP_1) | instskip(SKIP_2) | instid1(VALU_DEP_1)
	v_dual_add_f32 v87, v168, v87 :: v_dual_mul_f32 v168, 0x3e903f40, v133
	ds_store_2addr_b64 v169, v[84:85], v[86:87] offset0:100 offset1:151
	v_fma_f32 v84, 0xbf75a155, v132, -v168
	v_dual_add_f32 v84, v84, v153 :: v_dual_mul_f32 v153, 0x3e903f40, v122
	s_delay_alu instid0(VALU_DEP_1) | instskip(NEXT) | instid1(VALU_DEP_1)
	v_fmamk_f32 v85, v121, 0xbf75a155, v153
	v_dual_add_f32 v85, v85, v152 :: v_dual_mul_f32 v152, 0x3f68dda4, v129
	s_delay_alu instid0(VALU_DEP_1) | instskip(NEXT) | instid1(VALU_DEP_1)
	v_fma_f32 v86, 0x3ed4b147, v127, -v152
	v_add_f32_e32 v84, v86, v84
	v_fmamk_f32 v86, v126, 0x3ed4b147, v173
	s_delay_alu instid0(VALU_DEP_1) | instskip(SKIP_1) | instid1(VALU_DEP_1)
	v_add_f32_e32 v85, v86, v85
	v_fma_f32 v86, 0x3f575c64, v158, -v174
	v_add_f32_e32 v84, v86, v84
	v_fmamk_f32 v86, v119, 0x3f575c64, v175
	s_delay_alu instid0(VALU_DEP_1) | instskip(SKIP_1) | instid1(VALU_DEP_1)
	v_add_f32_e32 v85, v86, v85
	;; [unrolled: 5-line block ×3, first 2 shown]
	v_fma_f32 v86, 0xbe11bafb, v132, -v178
	v_dual_add_f32 v86, v86, v151 :: v_dual_mul_f32 v151, 0x3f7d64f0, v122
	s_delay_alu instid0(VALU_DEP_1) | instskip(NEXT) | instid1(VALU_DEP_1)
	v_fmamk_f32 v87, v121, 0xbe11bafb, v151
	v_dual_add_f32 v87, v87, v150 :: v_dual_mul_f32 v150, 0xbf0a6770, v129
	s_delay_alu instid0(VALU_DEP_1) | instskip(SKIP_1) | instid1(VALU_DEP_2)
	v_fma_f32 v183, 0x3f575c64, v127, -v150
	v_fmac_f32_e32 v150, 0x3f575c64, v127
	v_dual_add_f32 v86, v183, v86 :: v_dual_mul_f32 v183, 0xbf0a6770, v156
	s_delay_alu instid0(VALU_DEP_1) | instskip(NEXT) | instid1(VALU_DEP_1)
	v_fmamk_f32 v184, v126, 0x3f575c64, v183
	v_add_f32_e32 v87, v184, v87
	v_mul_f32_e32 v184, 0xbe903f40, v135
	s_delay_alu instid0(VALU_DEP_1) | instskip(NEXT) | instid1(VALU_DEP_1)
	v_fma_f32 v185, 0xbf75a155, v158, -v184
	v_dual_add_f32 v86, v185, v86 :: v_dual_mul_f32 v185, 0xbe903f40, v120
	v_fmac_f32_e32 v178, 0xbe11bafb, v132
	s_delay_alu instid0(VALU_DEP_2) | instskip(NEXT) | instid1(VALU_DEP_1)
	v_fmamk_f32 v186, v119, 0xbf75a155, v185
	v_add_f32_e32 v87, v186, v87
	v_mul_f32_e32 v186, 0x3f68dda4, v131
	v_mul_f32_e32 v131, 0xbf7d64f0, v131
	v_fmac_f32_e32 v176, 0xbf27a4f4, v160
	v_fmac_f32_e32 v136, 0x3ed4b147, v132
	s_delay_alu instid0(VALU_DEP_4) | instskip(SKIP_1) | instid1(VALU_DEP_2)
	v_fma_f32 v187, 0x3ed4b147, v160, -v186
	v_fmac_f32_e32 v186, 0x3ed4b147, v160
	v_dual_add_f32 v86, v187, v86 :: v_dual_mul_f32 v187, 0x3f68dda4, v125
	v_mul_f32_e32 v125, 0xbf7d64f0, v125
	s_delay_alu instid0(VALU_DEP_2) | instskip(NEXT) | instid1(VALU_DEP_1)
	v_fmamk_f32 v188, v123, 0x3ed4b147, v187
	v_add_f32_e32 v87, v188, v87
	ds_store_2addr_b64 v169, v[84:85], v[86:87] offset0:202 offset1:253
	v_dual_mul_f32 v86, 0x3f0a6770, v133 :: v_dual_mul_f32 v87, 0x3f0a6770, v122
	v_mul_f32_e32 v122, 0xbf4178ce, v129
	s_delay_alu instid0(VALU_DEP_2) | instskip(NEXT) | instid1(VALU_DEP_3)
	v_fma_f32 v84, 0x3f575c64, v132, -v86
	v_fmamk_f32 v85, v121, 0x3f575c64, v87
	s_delay_alu instid0(VALU_DEP_3) | instskip(SKIP_2) | instid1(VALU_DEP_4)
	v_fma_f32 v129, 0xbf27a4f4, v127, -v122
	v_fmac_f32_e32 v86, 0x3f575c64, v132
	v_fma_f32 v87, 0x3f575c64, v121, -v87
	v_dual_add_f32 v84, v84, v149 :: v_dual_add_f32 v85, v85, v148
	v_fmac_f32_e32 v122, 0xbf27a4f4, v127
	s_delay_alu instid0(VALU_DEP_3) | instskip(NEXT) | instid1(VALU_DEP_3)
	v_dual_add_f32 v86, v86, v147 :: v_dual_add_f32 v87, v87, v146
	v_add_f32_e32 v84, v129, v84
	v_mul_f32_e32 v129, 0xbf4178ce, v156
	v_fmac_f32_e32 v174, 0x3f575c64, v158
	s_delay_alu instid0(VALU_DEP_4) | instskip(SKIP_1) | instid1(VALU_DEP_4)
	v_add_f32_e32 v86, v122, v86
	v_fmac_f32_e32 v184, 0xbf75a155, v158
	v_dual_fmac_f32 v162, 0xbf27a4f4, v132 :: v_dual_fmamk_f32 v133, v126, 0xbf27a4f4, v129
	v_mul_f32_e32 v120, 0x3f68dda4, v120
	v_fma_f32 v122, 0xbf27a4f4, v126, -v129
	s_delay_alu instid0(VALU_DEP_3) | instskip(SKIP_1) | instid1(VALU_DEP_3)
	v_dual_fmac_f32 v128, 0xbe11bafb, v127 :: v_dual_add_f32 v85, v133, v85
	v_mul_f32_e32 v133, 0x3f68dda4, v135
	v_add_f32_e32 v87, v122, v87
	s_delay_alu instid0(VALU_DEP_2) | instskip(NEXT) | instid1(VALU_DEP_1)
	v_fma_f32 v135, 0x3ed4b147, v158, -v133
	v_dual_fmac_f32 v133, 0x3ed4b147, v158 :: v_dual_add_f32 v84, v135, v84
	v_fmamk_f32 v135, v119, 0x3ed4b147, v120
	v_fma_f32 v120, 0x3ed4b147, v119, -v120
	s_delay_alu instid0(VALU_DEP_2) | instskip(SKIP_1) | instid1(VALU_DEP_3)
	v_dual_add_f32 v86, v133, v86 :: v_dual_add_f32 v85, v135, v85
	v_fma_f32 v135, 0xbe11bafb, v160, -v131
	v_add_f32_e32 v87, v120, v87
	v_fmac_f32_e32 v131, 0xbe11bafb, v160
	v_fma_f32 v120, 0xbe11bafb, v123, -v125
	v_fmac_f32_e32 v134, 0xbf27a4f4, v158
	v_add_f32_e32 v84, v135, v84
	v_fmamk_f32 v135, v123, 0xbe11bafb, v125
	s_delay_alu instid0(VALU_DEP_4) | instskip(SKIP_1) | instid1(VALU_DEP_3)
	v_dual_add_f32 v86, v131, v86 :: v_dual_add_f32 v87, v120, v87
	v_fma_f32 v120, 0x3f575c64, v126, -v183
	v_dual_fmac_f32 v154, 0xbf75a155, v127 :: v_dual_add_f32 v85, v135, v85
	v_fmac_f32_e32 v130, 0xbf75a155, v160
	ds_store_2addr_b64 v180, v[84:85], v[86:87] offset0:48 offset1:99
	v_fma_f32 v85, 0xbf75a155, v121, -v153
	v_fma_f32 v87, 0xbe11bafb, v121, -v151
	;; [unrolled: 1-line block ×3, first 2 shown]
	s_delay_alu instid0(VALU_DEP_3) | instskip(NEXT) | instid1(VALU_DEP_3)
	v_add_f32_e32 v85, v85, v144
	v_dual_add_f32 v87, v87, v142 :: v_dual_fmac_f32 v168, 0xbf75a155, v132
	s_delay_alu instid0(VALU_DEP_2) | instskip(SKIP_1) | instid1(VALU_DEP_3)
	v_add_f32_e32 v85, v86, v85
	v_fma_f32 v86, 0x3f575c64, v119, -v175
	v_add_f32_e32 v87, v120, v87
	v_fma_f32 v120, 0xbf75a155, v119, -v185
	v_add_f32_e32 v84, v168, v145
	s_delay_alu instid0(VALU_DEP_4) | instskip(SKIP_1) | instid1(VALU_DEP_4)
	v_dual_fmac_f32 v164, 0xbe11bafb, v158 :: v_dual_add_f32 v85, v86, v85
	v_fma_f32 v86, 0xbf27a4f4, v123, -v177
	v_add_f32_e32 v87, v120, v87
	v_fma_f32 v120, 0x3ed4b147, v123, -v187
	s_delay_alu instid0(VALU_DEP_3) | instskip(SKIP_1) | instid1(VALU_DEP_3)
	v_add_f32_e32 v85, v86, v85
	v_add_f32_e32 v86, v178, v143
	;; [unrolled: 1-line block ×3, first 2 shown]
	v_fmac_f32_e32 v152, 0x3ed4b147, v127
	v_fma_f32 v120, 0xbf75a155, v126, -v163
	v_fmac_f32_e32 v166, 0x3f575c64, v160
	v_add_f32_e32 v86, v150, v86
	s_delay_alu instid0(VALU_DEP_4) | instskip(NEXT) | instid1(VALU_DEP_2)
	v_add_f32_e32 v84, v152, v84
	v_add_f32_e32 v86, v184, v86
	s_delay_alu instid0(VALU_DEP_2) | instskip(NEXT) | instid1(VALU_DEP_2)
	v_add_f32_e32 v84, v174, v84
	v_add_f32_e32 v86, v186, v86
	s_delay_alu instid0(VALU_DEP_2) | instskip(SKIP_4) | instid1(VALU_DEP_3)
	v_add_f32_e32 v84, v176, v84
	ds_store_2addr_b64 v180, v[86:87], v[84:85] offset0:150 offset1:201
	v_fma_f32 v85, 0x3ed4b147, v121, -v137
	v_fma_f32 v86, 0xbe11bafb, v126, -v157
	v_dual_add_f32 v84, v136, v141 :: v_dual_add_f32 v87, v162, v138
	v_add_f32_e32 v85, v85, v140
	s_delay_alu instid0(VALU_DEP_2) | instskip(NEXT) | instid1(VALU_DEP_2)
	v_dual_add_f32 v84, v128, v84 :: v_dual_add_f32 v87, v154, v87
	v_add_f32_e32 v85, v86, v85
	v_fma_f32 v86, 0xbf27a4f4, v119, -v159
	v_fma_f32 v119, 0xbe11bafb, v119, -v165
	s_delay_alu instid0(VALU_DEP_4) | instskip(NEXT) | instid1(VALU_DEP_3)
	v_dual_add_f32 v84, v134, v84 :: v_dual_add_f32 v87, v164, v87
	v_add_f32_e32 v85, v86, v85
	v_fma_f32 v86, 0xbf75a155, v123, -v161
	s_delay_alu instid0(VALU_DEP_3) | instskip(NEXT) | instid1(VALU_DEP_2)
	v_add_f32_e32 v84, v130, v84
	v_add_f32_e32 v85, v86, v85
	v_fma_f32 v86, 0xbf27a4f4, v121, -v155
	s_delay_alu instid0(VALU_DEP_1) | instskip(NEXT) | instid1(VALU_DEP_1)
	v_add_f32_e32 v86, v86, v139
	v_add_f32_e32 v86, v120, v86
	v_fma_f32 v120, 0x3f575c64, v123, -v167
	s_delay_alu instid0(VALU_DEP_2) | instskip(NEXT) | instid1(VALU_DEP_1)
	v_dual_add_f32 v119, v119, v86 :: v_dual_add_f32 v86, v166, v87
	v_add_f32_e32 v87, v120, v119
	v_sub_f32_e32 v119, v98, v118
	ds_store_2addr_b64 v181, v[86:87], v[84:85] offset0:124 offset1:175
	v_mul_f32_e32 v84, v51, v91
	v_mul_f32_e32 v85, v50, v91
	;; [unrolled: 1-line block ×5, first 2 shown]
	v_fma_f32 v84, v50, v90, -v84
	v_dual_fmac_f32 v85, v51, v90 :: v_dual_add_f32 v50, v48, v96
	v_add_f32_e32 v51, v49, v95
	s_delay_alu instid0(VALU_DEP_3) | instskip(SKIP_1) | instid1(VALU_DEP_3)
	v_dual_mul_f32 v152, 0x3f7d64f0, v119 :: v_dual_sub_f32 v87, v96, v84
	v_add_f32_e32 v86, v96, v84
	v_dual_add_f32 v50, v50, v98 :: v_dual_add_f32 v51, v51, v97
	v_sub_f32_e32 v96, v95, v85
	v_add_f32_e32 v95, v95, v85
	s_delay_alu instid0(VALU_DEP_3) | instskip(NEXT) | instid1(VALU_DEP_4)
	v_dual_mul_f32 v151, 0xbf4178ce, v87 :: v_dual_add_f32 v50, v50, v106
	v_dual_add_f32 v51, v51, v104 :: v_dual_add_f32 v98, v98, v118
	v_mul_f32_e32 v121, 0xbf0a6770, v87
	v_mul_f32_e32 v132, 0xbf68dda4, v87
	s_delay_alu instid0(VALU_DEP_3) | instskip(SKIP_3) | instid1(VALU_DEP_4)
	v_dual_add_f32 v50, v50, v105 :: v_dual_add_f32 v51, v51, v102
	v_mul_f32_e32 v142, 0xbf7d64f0, v87
	v_mul_f32_e32 v87, 0xbe903f40, v87
	;; [unrolled: 1-line block ×3, first 2 shown]
	v_add_f32_e32 v50, v50, v103
	s_delay_alu instid0(VALU_DEP_1) | instskip(NEXT) | instid1(VALU_DEP_1)
	v_dual_add_f32 v51, v51, v99 :: v_dual_add_f32 v50, v50, v110
	v_dual_add_f32 v51, v51, v107 :: v_dual_add_f32 v50, v50, v112
	s_delay_alu instid0(VALU_DEP_1) | instskip(NEXT) | instid1(VALU_DEP_1)
	v_dual_add_f32 v51, v51, v111 :: v_dual_add_f32 v50, v50, v114
	v_dual_add_f32 v51, v51, v113 :: v_dual_add_f32 v50, v50, v118
	s_delay_alu instid0(VALU_DEP_1) | instskip(SKIP_3) | instid1(VALU_DEP_4)
	v_add_f32_e32 v51, v51, v115
	v_sub_f32_e32 v118, v97, v115
	v_add_f32_e32 v97, v97, v115
	v_mul_f32_e32 v115, 0xbf0a6770, v96
	v_dual_add_f32 v50, v50, v84 :: v_dual_add_f32 v51, v51, v85
	s_delay_alu instid0(VALU_DEP_4) | instskip(NEXT) | instid1(VALU_DEP_4)
	v_mul_f32_e32 v120, 0xbf68dda4, v118
	v_fmamk_f32 v159, v97, 0x3f575c64, v119
	s_delay_alu instid0(VALU_DEP_4) | instskip(SKIP_3) | instid1(VALU_DEP_4)
	v_fma_f32 v84, 0x3f575c64, v86, -v115
	v_fmamk_f32 v123, v97, 0x3ed4b147, v122
	v_mul_f32_e32 v131, 0xbf4178ce, v118
	v_fma_f32 v85, 0x3ed4b147, v98, -v120
	v_dual_mul_f32 v141, 0x3e903f40, v118 :: v_dual_add_f32 v84, v48, v84
	v_fmamk_f32 v144, v97, 0xbf75a155, v143
	s_delay_alu instid0(VALU_DEP_2) | instskip(NEXT) | instid1(VALU_DEP_1)
	v_dual_add_f32 v84, v85, v84 :: v_dual_fmamk_f32 v85, v95, 0x3f575c64, v121
	v_add_f32_e32 v85, v49, v85
	s_delay_alu instid0(VALU_DEP_1) | instskip(SKIP_3) | instid1(VALU_DEP_2)
	v_add_f32_e32 v85, v123, v85
	v_add_f32_e32 v123, v106, v114
	v_sub_f32_e32 v106, v106, v114
	v_sub_f32_e32 v114, v104, v113
	v_dual_add_f32 v104, v104, v113 :: v_dual_mul_f32 v135, 0x3e903f40, v106
	s_delay_alu instid0(VALU_DEP_2) | instskip(SKIP_3) | instid1(VALU_DEP_4)
	v_mul_f32_e32 v113, 0xbf7d64f0, v114
	v_mul_f32_e32 v153, 0xbf0a6770, v114
	;; [unrolled: 1-line block ×3, first 2 shown]
	v_fmac_f32_e32 v115, 0x3f575c64, v86
	v_fma_f32 v125, 0xbe11bafb, v123, -v113
	s_delay_alu instid0(VALU_DEP_1) | instskip(SKIP_1) | instid1(VALU_DEP_1)
	v_dual_fmac_f32 v113, 0xbe11bafb, v123 :: v_dual_add_f32 v84, v125, v84
	v_mul_f32_e32 v125, 0xbf7d64f0, v106
	v_fmamk_f32 v126, v104, 0xbe11bafb, v125
	s_delay_alu instid0(VALU_DEP_1) | instskip(SKIP_1) | instid1(VALU_DEP_1)
	v_dual_add_f32 v85, v126, v85 :: v_dual_add_f32 v126, v105, v112
	v_dual_sub_f32 v105, v105, v112 :: v_dual_sub_f32 v112, v102, v111
	v_mul_f32_e32 v137, 0x3f7d64f0, v105
	s_delay_alu instid0(VALU_DEP_2) | instskip(SKIP_3) | instid1(VALU_DEP_3)
	v_dual_mul_f32 v155, 0xbe903f40, v112 :: v_dual_add_f32 v102, v102, v111
	v_mul_f32_e32 v111, 0xbf4178ce, v112
	v_mul_f32_e32 v136, 0x3f7d64f0, v112
	;; [unrolled: 1-line block ×3, first 2 shown]
	v_fma_f32 v127, 0xbf27a4f4, v126, -v111
	s_delay_alu instid0(VALU_DEP_1) | instskip(NEXT) | instid1(VALU_DEP_1)
	v_dual_add_f32 v84, v127, v84 :: v_dual_mul_f32 v127, 0xbf4178ce, v105
	v_fmamk_f32 v128, v102, 0xbf27a4f4, v127
	s_delay_alu instid0(VALU_DEP_1) | instskip(SKIP_3) | instid1(VALU_DEP_4)
	v_dual_add_f32 v85, v128, v85 :: v_dual_sub_f32 v128, v103, v110
	v_add_f32_e32 v103, v103, v110
	v_sub_f32_e32 v110, v99, v107
	v_add_f32_e32 v99, v99, v107
	v_mul_f32_e32 v139, 0x3f0a6770, v128
	s_delay_alu instid0(VALU_DEP_3) | instskip(SKIP_3) | instid1(VALU_DEP_4)
	v_mul_f32_e32 v107, 0xbe903f40, v110
	v_mul_f32_e32 v157, 0x3f68dda4, v110
	;; [unrolled: 1-line block ×4, first 2 shown]
	v_fma_f32 v129, 0xbf75a155, v103, -v107
	s_delay_alu instid0(VALU_DEP_1) | instskip(SKIP_1) | instid1(VALU_DEP_1)
	v_dual_fmac_f32 v107, 0xbf75a155, v103 :: v_dual_add_f32 v84, v129, v84
	v_mul_f32_e32 v129, 0xbe903f40, v128
	v_fmamk_f32 v130, v99, 0xbf75a155, v129
	s_delay_alu instid0(VALU_DEP_1)
	v_dual_add_f32 v85, v130, v85 :: v_dual_mul_f32 v130, 0xbf68dda4, v96
	ds_store_2addr_b64 v94, v[50:51], v[84:85] offset0:98 offset1:149
	v_fma_f32 v50, 0x3ed4b147, v86, -v130
	v_fma_f32 v51, 0xbf27a4f4, v98, -v131
	v_fmamk_f32 v84, v97, 0xbf27a4f4, v133
	v_fma_f32 v85, 0xbf75a155, v98, -v141
	s_delay_alu instid0(VALU_DEP_4) | instskip(NEXT) | instid1(VALU_DEP_1)
	v_add_f32_e32 v50, v48, v50
	v_add_f32_e32 v50, v51, v50
	v_fmamk_f32 v51, v95, 0x3ed4b147, v132
	s_delay_alu instid0(VALU_DEP_1) | instskip(NEXT) | instid1(VALU_DEP_1)
	v_add_f32_e32 v51, v49, v51
	v_add_f32_e32 v51, v84, v51
	v_fma_f32 v84, 0xbf75a155, v123, -v134
	s_delay_alu instid0(VALU_DEP_1) | instskip(SKIP_1) | instid1(VALU_DEP_1)
	v_add_f32_e32 v50, v84, v50
	v_fmamk_f32 v84, v104, 0xbf75a155, v135
	v_add_f32_e32 v51, v84, v51
	v_fma_f32 v84, 0xbe11bafb, v126, -v136
	s_delay_alu instid0(VALU_DEP_1) | instskip(SKIP_1) | instid1(VALU_DEP_1)
	v_add_f32_e32 v50, v84, v50
	v_fmamk_f32 v84, v102, 0xbe11bafb, v137
	;; [unrolled: 5-line block ×3, first 2 shown]
	v_add_f32_e32 v51, v84, v51
	v_fma_f32 v84, 0xbe11bafb, v86, -v140
	s_delay_alu instid0(VALU_DEP_1) | instskip(NEXT) | instid1(VALU_DEP_1)
	v_add_f32_e32 v84, v48, v84
	v_dual_add_f32 v84, v85, v84 :: v_dual_fmamk_f32 v85, v95, 0xbe11bafb, v142
	s_delay_alu instid0(VALU_DEP_1) | instskip(NEXT) | instid1(VALU_DEP_1)
	v_add_f32_e32 v85, v49, v85
	v_dual_add_f32 v85, v144, v85 :: v_dual_mul_f32 v144, 0x3f68dda4, v114
	v_mul_f32_e32 v114, 0xbf4178ce, v114
	s_delay_alu instid0(VALU_DEP_2) | instskip(SKIP_1) | instid1(VALU_DEP_2)
	v_fma_f32 v145, 0x3ed4b147, v123, -v144
	v_fmac_f32_e32 v144, 0x3ed4b147, v123
	v_dual_add_f32 v84, v145, v84 :: v_dual_mul_f32 v145, 0x3f68dda4, v106
	s_delay_alu instid0(VALU_DEP_1) | instskip(NEXT) | instid1(VALU_DEP_1)
	v_fmamk_f32 v146, v104, 0x3ed4b147, v145
	v_dual_add_f32 v85, v146, v85 :: v_dual_mul_f32 v146, 0xbf0a6770, v112
	v_mul_f32_e32 v112, 0x3f68dda4, v112
	s_delay_alu instid0(VALU_DEP_2) | instskip(NEXT) | instid1(VALU_DEP_1)
	v_fma_f32 v147, 0x3f575c64, v126, -v146
	v_dual_add_f32 v84, v147, v84 :: v_dual_mul_f32 v147, 0xbf0a6770, v105
	v_mul_f32_e32 v105, 0x3f68dda4, v105
	v_mul_f32_e32 v154, 0xbf0a6770, v106
	;; [unrolled: 1-line block ×3, first 2 shown]
	s_delay_alu instid0(VALU_DEP_4) | instskip(NEXT) | instid1(VALU_DEP_1)
	v_fmamk_f32 v148, v102, 0x3f575c64, v147
	v_dual_add_f32 v85, v148, v85 :: v_dual_mul_f32 v148, 0xbf4178ce, v110
	v_mul_f32_e32 v110, 0xbf7d64f0, v110
	s_delay_alu instid0(VALU_DEP_2) | instskip(SKIP_1) | instid1(VALU_DEP_2)
	v_fma_f32 v149, 0xbf27a4f4, v103, -v148
	v_fmac_f32_e32 v148, 0xbf27a4f4, v103
	v_add_f32_e32 v84, v149, v84
	v_mul_f32_e32 v149, 0xbf4178ce, v128
	s_delay_alu instid0(VALU_DEP_1) | instskip(NEXT) | instid1(VALU_DEP_1)
	v_fmamk_f32 v150, v99, 0xbf27a4f4, v149
	v_dual_add_f32 v85, v150, v85 :: v_dual_mul_f32 v150, 0x3f7d64f0, v118
	v_mul_f32_e32 v118, 0x3f0a6770, v118
	ds_store_2addr_b64 v94, v[50:51], v[84:85] offset0:200 offset1:251
	v_mul_f32_e32 v94, 0xbf4178ce, v96
	v_fma_f32 v51, 0xbe11bafb, v98, -v150
	v_fmamk_f32 v84, v97, 0xbe11bafb, v152
	v_mul_f32_e32 v96, 0xbe903f40, v96
	s_delay_alu instid0(VALU_DEP_4) | instskip(SKIP_1) | instid1(VALU_DEP_2)
	v_fma_f32 v50, 0xbf27a4f4, v86, -v94
	v_fmac_f32_e32 v94, 0xbf27a4f4, v86
	v_add_f32_e32 v50, v48, v50
	s_delay_alu instid0(VALU_DEP_1) | instskip(SKIP_1) | instid1(VALU_DEP_1)
	v_add_f32_e32 v50, v51, v50
	v_fmamk_f32 v51, v95, 0xbf27a4f4, v151
	v_add_f32_e32 v51, v49, v51
	s_delay_alu instid0(VALU_DEP_1) | instskip(SKIP_4) | instid1(VALU_DEP_4)
	v_add_f32_e32 v51, v84, v51
	v_fma_f32 v84, 0x3f575c64, v123, -v153
	v_fmac_f32_e32 v153, 0x3f575c64, v123
	v_mul_f32_e32 v158, 0x3f68dda4, v128
	v_mul_f32_e32 v128, 0xbf7d64f0, v128
	v_add_f32_e32 v50, v84, v50
	v_fmamk_f32 v84, v104, 0x3f575c64, v154
	s_delay_alu instid0(VALU_DEP_1) | instskip(SKIP_1) | instid1(VALU_DEP_1)
	v_add_f32_e32 v51, v84, v51
	v_fma_f32 v84, 0xbf75a155, v126, -v155
	v_add_f32_e32 v50, v84, v50
	v_fmamk_f32 v84, v102, 0xbf75a155, v156
	s_delay_alu instid0(VALU_DEP_1) | instskip(SKIP_1) | instid1(VALU_DEP_1)
	v_add_f32_e32 v51, v84, v51
	v_fma_f32 v84, 0x3ed4b147, v103, -v157
	v_dual_fmac_f32 v157, 0x3ed4b147, v103 :: v_dual_add_f32 v50, v84, v50
	v_fmamk_f32 v84, v99, 0x3ed4b147, v158
	s_delay_alu instid0(VALU_DEP_1)
	v_add_f32_e32 v51, v84, v51
	v_fma_f32 v84, 0xbf75a155, v86, -v96
	v_fma_f32 v85, 0x3f575c64, v98, -v118
	v_fmac_f32_e32 v96, 0xbf75a155, v86
	v_fmac_f32_e32 v150, 0xbe11bafb, v98
	;; [unrolled: 1-line block ×3, first 2 shown]
	v_dual_add_f32 v84, v48, v84 :: v_dual_fmac_f32 v131, 0xbf27a4f4, v98
	s_delay_alu instid0(VALU_DEP_1) | instskip(SKIP_1) | instid1(VALU_DEP_1)
	v_dual_fmac_f32 v141, 0xbf75a155, v98 :: v_dual_add_f32 v84, v85, v84
	v_fmamk_f32 v85, v95, 0xbf75a155, v87
	v_dual_add_f32 v85, v49, v85 :: v_dual_fmac_f32 v120, 0x3ed4b147, v98
	s_delay_alu instid0(VALU_DEP_1) | instskip(SKIP_2) | instid1(VALU_DEP_2)
	v_add_f32_e32 v85, v159, v85
	v_fma_f32 v159, 0xbf27a4f4, v123, -v114
	v_fmac_f32_e32 v114, 0xbf27a4f4, v123
	v_dual_add_f32 v84, v159, v84 :: v_dual_fmamk_f32 v159, v104, 0xbf27a4f4, v106
	s_delay_alu instid0(VALU_DEP_1) | instskip(SKIP_1) | instid1(VALU_DEP_1)
	v_add_f32_e32 v85, v159, v85
	v_fma_f32 v159, 0x3ed4b147, v126, -v112
	v_dual_add_f32 v84, v159, v84 :: v_dual_fmamk_f32 v159, v102, 0x3ed4b147, v105
	s_delay_alu instid0(VALU_DEP_1) | instskip(SKIP_2) | instid1(VALU_DEP_2)
	v_add_f32_e32 v85, v159, v85
	v_fma_f32 v159, 0xbe11bafb, v103, -v110
	v_fmac_f32_e32 v110, 0xbe11bafb, v103
	v_add_f32_e32 v84, v159, v84
	v_fmamk_f32 v159, v99, 0xbe11bafb, v128
	s_delay_alu instid0(VALU_DEP_1)
	v_add_f32_e32 v85, v159, v85
	v_add_nc_u32_e32 v159, 0x2800, v1
	v_fmac_f32_e32 v155, 0xbf75a155, v126
	v_fmac_f32_e32 v112, 0x3ed4b147, v126
	;; [unrolled: 1-line block ×4, first 2 shown]
	ds_store_2addr_b64 v159, v[50:51], v[84:85] offset0:46 offset1:97
	v_fma_f32 v51, 0xbf27a4f4, v95, -v151
	v_fma_f32 v84, 0xbe11bafb, v97, -v152
	;; [unrolled: 1-line block ×3, first 2 shown]
	v_add_f32_e32 v50, v48, v94
	v_fma_f32 v87, 0x3f575c64, v97, -v119
	v_add_f32_e32 v51, v49, v51
	s_delay_alu instid0(VALU_DEP_3) | instskip(NEXT) | instid1(VALU_DEP_2)
	v_dual_add_f32 v85, v49, v85 :: v_dual_add_f32 v50, v150, v50
	v_add_f32_e32 v51, v84, v51
	v_fma_f32 v84, 0x3f575c64, v104, -v154
	s_delay_alu instid0(VALU_DEP_3) | instskip(SKIP_1) | instid1(VALU_DEP_3)
	v_add_f32_e32 v85, v87, v85
	v_fma_f32 v87, 0xbf27a4f4, v104, -v106
	v_dual_add_f32 v50, v153, v50 :: v_dual_add_f32 v51, v84, v51
	v_fma_f32 v84, 0xbf75a155, v102, -v156
	s_delay_alu instid0(VALU_DEP_3) | instskip(SKIP_1) | instid1(VALU_DEP_3)
	v_add_f32_e32 v85, v87, v85
	v_fma_f32 v87, 0x3ed4b147, v102, -v105
	v_dual_add_f32 v50, v155, v50 :: v_dual_add_f32 v51, v84, v51
	;; [unrolled: 5-line block ×3, first 2 shown]
	s_delay_alu instid0(VALU_DEP_2) | instskip(SKIP_3) | instid1(VALU_DEP_4)
	v_dual_add_f32 v84, v48, v96 :: v_dual_add_f32 v85, v87, v85
	v_fmac_f32_e32 v130, 0x3ed4b147, v86
	v_fma_f32 v87, 0xbf75a155, v97, -v143
	v_fmac_f32_e32 v134, 0xbf75a155, v123
	v_add_f32_e32 v84, v118, v84
	s_delay_alu instid0(VALU_DEP_1) | instskip(NEXT) | instid1(VALU_DEP_1)
	v_add_f32_e32 v84, v114, v84
	v_add_f32_e32 v84, v112, v84
	s_delay_alu instid0(VALU_DEP_1) | instskip(SKIP_4) | instid1(VALU_DEP_3)
	v_add_f32_e32 v84, v110, v84
	ds_store_2addr_b64 v159, v[84:85], v[50:51] offset0:148 offset1:199
	v_fma_f32 v51, 0x3ed4b147, v95, -v132
	v_fma_f32 v84, 0xbf27a4f4, v97, -v133
	;; [unrolled: 1-line block ×3, first 2 shown]
	v_dual_add_f32 v50, v48, v130 :: v_dual_add_f32 v51, v49, v51
	s_delay_alu instid0(VALU_DEP_1) | instskip(NEXT) | instid1(VALU_DEP_2)
	v_dual_add_f32 v85, v49, v85 :: v_dual_add_f32 v50, v131, v50
	v_add_f32_e32 v51, v84, v51
	v_fma_f32 v84, 0xbf75a155, v104, -v135
	s_delay_alu instid0(VALU_DEP_3) | instskip(SKIP_2) | instid1(VALU_DEP_4)
	v_add_f32_e32 v85, v87, v85
	v_fma_f32 v87, 0x3ed4b147, v104, -v145
	v_add_f32_e32 v50, v134, v50
	v_dual_fmac_f32 v136, 0xbe11bafb, v126 :: v_dual_add_f32 v51, v84, v51
	v_fma_f32 v84, 0xbe11bafb, v102, -v137
	s_delay_alu instid0(VALU_DEP_4) | instskip(SKIP_1) | instid1(VALU_DEP_4)
	v_add_f32_e32 v85, v87, v85
	v_fma_f32 v87, 0x3f575c64, v102, -v147
	v_add_f32_e32 v50, v136, v50
	v_fmac_f32_e32 v138, 0x3f575c64, v103
	v_add_f32_e32 v51, v84, v51
	v_fma_f32 v84, 0x3f575c64, v99, -v139
	v_dual_fmac_f32 v140, 0xbe11bafb, v86 :: v_dual_add_f32 v85, v87, v85
	v_fma_f32 v87, 0xbf27a4f4, v99, -v149
	s_delay_alu instid0(VALU_DEP_3) | instskip(NEXT) | instid1(VALU_DEP_3)
	v_dual_add_f32 v50, v138, v50 :: v_dual_add_f32 v51, v84, v51
	v_add_f32_e32 v84, v48, v140
	s_delay_alu instid0(VALU_DEP_3) | instskip(NEXT) | instid1(VALU_DEP_2)
	v_dual_add_f32 v48, v48, v115 :: v_dual_add_f32 v85, v87, v85
	v_dual_add_f32 v84, v141, v84 :: v_dual_add_nc_u32 v87, 0x2c00, v1
	s_delay_alu instid0(VALU_DEP_2) | instskip(NEXT) | instid1(VALU_DEP_2)
	v_add_f32_e32 v48, v120, v48
	v_add_f32_e32 v84, v144, v84
	s_delay_alu instid0(VALU_DEP_2) | instskip(NEXT) | instid1(VALU_DEP_2)
	v_add_f32_e32 v48, v113, v48
	v_add_f32_e32 v84, v146, v84
	;; [unrolled: 3-line block ×3, first 2 shown]
	s_delay_alu instid0(VALU_DEP_2) | instskip(SKIP_2) | instid1(VALU_DEP_1)
	v_add_f32_e32 v48, v107, v48
	ds_store_2addr_b64 v87, v[84:85], v[50:51] offset0:122 offset1:173
	v_fma_f32 v50, 0x3f575c64, v95, -v121
	v_add_f32_e32 v49, v49, v50
	v_fma_f32 v50, 0x3ed4b147, v97, -v122
	s_delay_alu instid0(VALU_DEP_1) | instskip(SKIP_1) | instid1(VALU_DEP_1)
	v_add_f32_e32 v49, v50, v49
	v_fma_f32 v50, 0xbe11bafb, v104, -v125
	v_add_f32_e32 v49, v50, v49
	v_fma_f32 v50, 0xbf27a4f4, v102, -v127
	s_delay_alu instid0(VALU_DEP_1) | instskip(SKIP_1) | instid1(VALU_DEP_1)
	v_add_f32_e32 v49, v50, v49
	v_fma_f32 v50, 0xbf75a155, v99, -v129
	v_dual_add_f32 v49, v50, v49 :: v_dual_lshlrev_b32 v50, 4, v0
	ds_store_b64 v1, v[48:49] offset:13056
	v_lshlrev_b32_e32 v48, 4, v3
	s_waitcnt lgkmcnt(0)
	s_waitcnt_vscnt null, 0x0
	s_barrier
	buffer_gl0_inv
	v_add_co_u32 v48, s0, s2, v48
	s_delay_alu instid0(VALU_DEP_1) | instskip(NEXT) | instid1(VALU_DEP_2)
	v_add_co_ci_u32_e64 v49, null, s3, 0, s0
	v_add_co_u32 v48, s0, 0x1000, v48
	s_delay_alu instid0(VALU_DEP_1) | instskip(SKIP_1) | instid1(VALU_DEP_1)
	v_add_co_ci_u32_e64 v49, s0, 0, v49, s0
	v_add_co_u32 v50, s0, s2, v50
	v_add_co_ci_u32_e64 v51, null, s3, 0, s0
	s_delay_alu instid0(VALU_DEP_2) | instskip(NEXT) | instid1(VALU_DEP_1)
	v_add_co_u32 v84, s0, 0x1000, v50
	v_add_co_ci_u32_e64 v85, s0, 0, v51, s0
	s_clause 0x1
	global_load_b128 v[48:51], v[48:49], off offset:256
	global_load_b128 v[84:87], v[84:85], off offset:256
	ds_load_2addr_b64 v[94:97], v170 offset0:98 offset1:149
	ds_load_2addr_b64 v[102:105], v169 offset0:100 offset1:151
	v_add_co_u32 v92, s0, s2, v92
	s_waitcnt vmcnt(1) lgkmcnt(1)
	v_mul_f32_e32 v98, v95, v51
	v_mul_f32_e32 v129, v94, v51
	s_waitcnt vmcnt(0)
	v_mul_f32_e32 v131, v96, v87
	s_waitcnt lgkmcnt(0)
	v_mul_f32_e32 v183, v102, v85
	v_fma_f32 v128, v94, v50, -v98
	v_dual_mul_f32 v94, v97, v87 :: v_dual_fmac_f32 v129, v95, v50
	v_add_co_ci_u32_e64 v95, null, s3, 0, s0
	v_fmac_f32_e32 v131, v97, v86
	s_delay_alu instid0(VALU_DEP_3) | instskip(SKIP_4) | instid1(VALU_DEP_3)
	v_fma_f32 v130, v96, v86, -v94
	v_add_co_u32 v94, s0, 0x1000, v92
	v_lshlrev_b32_e32 v92, 4, v93
	v_add_co_ci_u32_e64 v95, s0, 0, v95, s0
	v_fmac_f32_e32 v183, v103, v84
	v_add_co_u32 v92, s0, s2, v92
	s_delay_alu instid0(VALU_DEP_1) | instskip(NEXT) | instid1(VALU_DEP_2)
	v_add_co_ci_u32_e64 v93, null, s3, 0, s0
	v_add_co_u32 v96, s0, 0x1000, v92
	v_mul_f32_e32 v92, v103, v85
	s_delay_alu instid0(VALU_DEP_3) | instskip(SKIP_1) | instid1(VALU_DEP_3)
	v_add_co_ci_u32_e64 v97, s0, 0, v93, s0
	v_add_co_u32 v101, s0, s2, v101
	v_fma_f32 v162, v102, v84, -v92
	s_clause 0x1
	global_load_b128 v[92:95], v[94:95], off offset:256
	global_load_b128 v[96:99], v[96:97], off offset:256
	ds_load_2addr_b64 v[110:113], v169 offset0:202 offset1:253
	s_waitcnt vmcnt(1)
	v_mul_f32_e32 v102, v105, v93
	v_mul_f32_e32 v139, v104, v93
	s_waitcnt vmcnt(0) lgkmcnt(0)
	v_mul_f32_e32 v187, v110, v97
	s_delay_alu instid0(VALU_DEP_3) | instskip(NEXT) | instid1(VALU_DEP_3)
	v_fma_f32 v138, v104, v92, -v102
	v_fmac_f32_e32 v139, v105, v92
	ds_load_2addr_b64 v[102:105], v170 offset0:200 offset1:251
	v_fmac_f32_e32 v187, v111, v96
	s_waitcnt lgkmcnt(0)
	v_mul_f32_e32 v106, v103, v95
	v_mul_f32_e32 v137, v102, v95
	;; [unrolled: 1-line block ×3, first 2 shown]
	s_delay_alu instid0(VALU_DEP_3) | instskip(NEXT) | instid1(VALU_DEP_3)
	v_fma_f32 v136, v102, v94, -v106
	v_dual_mul_f32 v102, v105, v99 :: v_dual_fmac_f32 v137, v103, v94
	s_delay_alu instid0(VALU_DEP_2) | instskip(NEXT) | instid1(VALU_DEP_2)
	v_dual_fmac_f32 v143, v105, v98 :: v_dual_sub_f32 v192, v138, v136
	v_fma_f32 v142, v104, v98, -v102
	v_add_co_ci_u32_e64 v102, null, s3, 0, s0
	v_add_co_u32 v101, s0, 0x1000, v101
	s_delay_alu instid0(VALU_DEP_1) | instskip(SKIP_1) | instid1(VALU_DEP_1)
	v_add_co_ci_u32_e64 v102, s0, 0, v102, s0
	v_add_co_u32 v100, s0, s2, v100
	v_add_co_ci_u32_e64 v103, null, s3, 0, s0
	s_delay_alu instid0(VALU_DEP_2) | instskip(SKIP_1) | instid1(VALU_DEP_3)
	v_add_co_u32 v104, s0, 0x1000, v100
	v_mul_f32_e32 v100, v111, v97
	v_add_co_ci_u32_e64 v105, s0, 0, v103, s0
	v_add_co_u32 v108, s0, s2, v108
	s_delay_alu instid0(VALU_DEP_3)
	v_fma_f32 v188, v110, v96, -v100
	s_clause 0x1
	global_load_b128 v[100:103], v[101:102], off offset:256
	global_load_b128 v[104:107], v[104:105], off offset:256
	ds_load_2addr_b64 v[118:121], v180 offset0:48 offset1:99
	s_waitcnt vmcnt(1)
	v_mul_f32_e32 v110, v113, v101
	v_mul_f32_e32 v147, v112, v101
	s_waitcnt vmcnt(0) lgkmcnt(0)
	v_mul_f32_e32 v151, v118, v105
	s_delay_alu instid0(VALU_DEP_3) | instskip(NEXT) | instid1(VALU_DEP_3)
	v_fma_f32 v146, v112, v100, -v110
	v_fmac_f32_e32 v147, v113, v100
	ds_load_2addr_b64 v[110:113], v179 offset0:46 offset1:97
	v_fmac_f32_e32 v151, v119, v104
	s_waitcnt lgkmcnt(0)
	v_mul_f32_e32 v114, v111, v103
	v_mul_f32_e32 v149, v110, v103
	;; [unrolled: 1-line block ×3, first 2 shown]
	s_delay_alu instid0(VALU_DEP_3) | instskip(NEXT) | instid1(VALU_DEP_3)
	v_fma_f32 v148, v110, v102, -v114
	v_dual_mul_f32 v110, v113, v107 :: v_dual_fmac_f32 v149, v111, v102
	v_add_co_ci_u32_e64 v111, null, s3, 0, s0
	s_delay_alu instid0(VALU_DEP_4) | instskip(NEXT) | instid1(VALU_DEP_3)
	v_fmac_f32_e32 v145, v113, v106
	v_fma_f32 v144, v112, v106, -v110
	v_add_co_u32 v110, s0, 0x1000, v108
	v_lshlrev_b32_e32 v108, 4, v109
	v_add_co_ci_u32_e64 v111, s0, 0, v111, s0
	s_delay_alu instid0(VALU_DEP_2) | instskip(NEXT) | instid1(VALU_DEP_1)
	v_add_co_u32 v108, s0, s2, v108
	v_add_co_ci_u32_e64 v109, null, s3, 0, s0
	s_delay_alu instid0(VALU_DEP_2) | instskip(SKIP_1) | instid1(VALU_DEP_3)
	v_add_co_u32 v112, s0, 0x1000, v108
	v_mul_f32_e32 v108, v119, v105
	v_add_co_ci_u32_e64 v113, s0, 0, v109, s0
	v_add_co_u32 v116, s0, s2, v116
	s_delay_alu instid0(VALU_DEP_3)
	v_fma_f32 v150, v118, v104, -v108
	s_clause 0x1
	global_load_b128 v[108:111], v[110:111], off offset:256
	global_load_b128 v[112:115], v[112:113], off offset:256
	ds_load_2addr_b64 v[132:135], v180 offset0:150 offset1:201
	s_waitcnt vmcnt(1)
	v_mul_f32_e32 v118, v121, v109
	v_mul_f32_e32 v158, v120, v109
	s_waitcnt vmcnt(0) lgkmcnt(0)
	v_mul_f32_e32 v154, v132, v113
	s_delay_alu instid0(VALU_DEP_3) | instskip(NEXT) | instid1(VALU_DEP_3)
	v_fma_f32 v156, v120, v108, -v118
	v_fmac_f32_e32 v158, v121, v108
	ds_load_2addr_b64 v[118:121], v179 offset0:148 offset1:199
	v_fmac_f32_e32 v154, v133, v112
	s_waitcnt lgkmcnt(0)
	v_mul_f32_e32 v122, v119, v111
	v_mul_f32_e32 v159, v118, v111
	;; [unrolled: 1-line block ×3, first 2 shown]
	s_delay_alu instid0(VALU_DEP_3) | instskip(NEXT) | instid1(VALU_DEP_3)
	v_fma_f32 v157, v118, v110, -v122
	v_dual_mul_f32 v118, v121, v115 :: v_dual_fmac_f32 v159, v119, v110
	v_add_co_ci_u32_e64 v119, null, s3, 0, s0
	s_delay_alu instid0(VALU_DEP_4) | instskip(NEXT) | instid1(VALU_DEP_3)
	v_fmac_f32_e32 v141, v121, v114
	v_fma_f32 v140, v120, v114, -v118
	v_add_co_u32 v118, s0, 0x1000, v116
	v_lshlrev_b32_e32 v116, 4, v117
	v_add_co_ci_u32_e64 v119, s0, 0, v119, s0
	s_delay_alu instid0(VALU_DEP_2) | instskip(NEXT) | instid1(VALU_DEP_1)
	v_add_co_u32 v116, s0, s2, v116
	v_add_co_ci_u32_e64 v117, null, s3, 0, s0
	s_delay_alu instid0(VALU_DEP_2) | instskip(SKIP_1) | instid1(VALU_DEP_3)
	v_add_co_u32 v120, s0, 0x1000, v116
	v_mul_f32_e32 v116, v133, v113
	v_add_co_ci_u32_e64 v121, s0, 0, v117, s0
	v_add_co_u32 v124, s0, s2, v124
	s_delay_alu instid0(VALU_DEP_3)
	v_fma_f32 v153, v132, v112, -v116
	s_clause 0x1
	global_load_b128 v[116:119], v[118:119], off offset:256
	global_load_b128 v[120:123], v[120:121], off offset:256
	ds_load_2addr_b64 v[175:178], v244 offset1:51
	s_add_u32 s2, s12, 0x3498
	s_waitcnt lgkmcnt(0)
	v_dual_add_f32 v189, v177, v162 :: v_dual_add_f32 v190, v178, v183
	s_waitcnt vmcnt(1)
	v_mul_f32_e32 v125, v135, v117
	v_mul_f32_e32 v155, v134, v117
	s_delay_alu instid0(VALU_DEP_2) | instskip(NEXT) | instid1(VALU_DEP_2)
	v_fma_f32 v163, v134, v116, -v125
	v_fmac_f32_e32 v155, v135, v116
	ds_load_2addr_b64 v[132:135], v171 offset0:122 offset1:173
	s_waitcnt lgkmcnt(0)
	v_mul_f32_e32 v125, v133, v119
	v_mul_f32_e32 v168, v132, v119
	s_waitcnt vmcnt(0)
	v_mul_f32_e32 v164, v134, v123
	s_delay_alu instid0(VALU_DEP_3) | instskip(NEXT) | instid1(VALU_DEP_3)
	v_fma_f32 v165, v132, v118, -v125
	v_dual_mul_f32 v125, v135, v123 :: v_dual_fmac_f32 v168, v133, v118
	s_delay_alu instid0(VALU_DEP_3) | instskip(NEXT) | instid1(VALU_DEP_2)
	v_fmac_f32_e32 v164, v135, v122
	v_fma_f32 v152, v134, v122, -v125
	ds_load_2addr_b64 v[132:135], v181 offset0:124 offset1:175
	v_add_co_ci_u32_e64 v125, null, s3, 0, s0
	v_add_co_u32 v124, s0, 0x1000, v124
	s_addc_u32 s3, s13, 0
	s_delay_alu instid0(VALU_DEP_2) | instskip(SKIP_3) | instid1(VALU_DEP_2)
	v_add_co_ci_u32_e64 v125, s0, 0, v125, s0
	s_waitcnt lgkmcnt(0)
	v_mul_f32_e32 v126, v133, v121
	v_mul_f32_e32 v174, v132, v121
	v_fma_f32 v166, v132, v120, -v126
	global_load_b128 v[124:127], v[124:125], off offset:256
	v_fmac_f32_e32 v174, v133, v120
	s_waitcnt vmcnt(0)
	v_mul_f32_e32 v132, v135, v125
	v_mul_f32_e32 v173, v134, v125
	s_delay_alu instid0(VALU_DEP_2) | instskip(NEXT) | instid1(VALU_DEP_2)
	v_fma_f32 v167, v134, v124, -v132
	v_fmac_f32_e32 v173, v135, v124
	ds_load_2addr_b64 v[132:135], v172 offset0:126 offset1:177
	s_waitcnt lgkmcnt(0)
	v_mul_f32_e32 v160, v135, v49
	v_mul_f32_e32 v186, v134, v49
	s_delay_alu instid0(VALU_DEP_2) | instskip(NEXT) | instid1(VALU_DEP_2)
	v_fma_f32 v185, v134, v48, -v160
	v_fmac_f32_e32 v186, v135, v48
	s_delay_alu instid0(VALU_DEP_1) | instskip(SKIP_2) | instid1(VALU_DEP_3)
	v_dual_add_f32 v134, v185, v128 :: v_dual_add_f32 v135, v186, v129
	v_dual_sub_f32 v161, v186, v129 :: v_dual_sub_f32 v184, v185, v128
	v_add_f32_e32 v191, v176, v186
	v_fma_f32 v134, -0.5, v134, v175
	s_delay_alu instid0(VALU_DEP_4) | instskip(SKIP_1) | instid1(VALU_DEP_3)
	v_fma_f32 v135, -0.5, v135, v176
	v_sub_f32_e32 v186, v139, v137
	v_dual_add_f32 v129, v191, v129 :: v_dual_fmamk_f32 v160, v161, 0x3f5db3d7, v134
	s_delay_alu instid0(VALU_DEP_3) | instskip(SKIP_3) | instid1(VALU_DEP_3)
	v_dual_fmac_f32 v134, 0xbf5db3d7, v161 :: v_dual_fmamk_f32 v161, v184, 0xbf5db3d7, v135
	v_dual_fmac_f32 v135, 0x3f5db3d7, v184 :: v_dual_add_f32 v184, v162, v130
	v_sub_f32_e32 v162, v162, v130
	v_add_f32_e32 v130, v189, v130
	v_fma_f32 v177, -0.5, v184, v177
	v_add_f32_e32 v184, v183, v131
	s_delay_alu instid0(VALU_DEP_1) | instskip(SKIP_2) | instid1(VALU_DEP_2)
	v_fmac_f32_e32 v178, -0.5, v184
	v_sub_f32_e32 v184, v183, v131
	v_add_f32_e32 v131, v190, v131
	v_fmamk_f32 v183, v184, 0x3f5db3d7, v177
	s_delay_alu instid0(VALU_DEP_4)
	v_dual_fmac_f32 v177, 0xbf5db3d7, v184 :: v_dual_fmamk_f32 v184, v162, 0xbf5db3d7, v178
	v_fmac_f32_e32 v178, 0x3f5db3d7, v162
	v_add_f32_e32 v162, v175, v185
	ds_store_2addr_b64 v170, v[134:135], v[177:178] offset0:98 offset1:149
	ds_load_2addr_b64 v[175:178], v244 offset0:102 offset1:153
	v_dual_add_f32 v134, v138, v136 :: v_dual_add_f32 v135, v139, v137
	v_add_f32_e32 v128, v162, v128
	s_waitcnt lgkmcnt(0)
	s_delay_alu instid0(VALU_DEP_2) | instskip(NEXT) | instid1(VALU_DEP_3)
	v_fma_f32 v134, -0.5, v134, v175
	v_fma_f32 v135, -0.5, v135, v176
	v_dual_add_f32 v193, v177, v188 :: v_dual_add_f32 v194, v178, v187
	s_delay_alu instid0(VALU_DEP_3) | instskip(SKIP_1) | instid1(VALU_DEP_4)
	v_fmamk_f32 v185, v186, 0x3f5db3d7, v134
	v_fmac_f32_e32 v134, 0xbf5db3d7, v186
	v_fmamk_f32 v186, v192, 0xbf5db3d7, v135
	v_dual_fmac_f32 v135, 0x3f5db3d7, v192 :: v_dual_add_f32 v192, v188, v142
	s_delay_alu instid0(VALU_DEP_1) | instskip(SKIP_1) | instid1(VALU_DEP_1)
	v_fma_f32 v177, -0.5, v192, v177
	v_add_f32_e32 v192, v187, v143
	v_fmac_f32_e32 v178, -0.5, v192
	v_sub_f32_e32 v192, v187, v143
	s_delay_alu instid0(VALU_DEP_1) | instskip(SKIP_1) | instid1(VALU_DEP_1)
	v_fmamk_f32 v187, v192, 0x3f5db3d7, v177
	v_dual_fmac_f32 v177, 0xbf5db3d7, v192 :: v_dual_sub_f32 v192, v188, v142
	v_fmamk_f32 v188, v192, 0xbf5db3d7, v178
	v_fmac_f32_e32 v178, 0x3f5db3d7, v192
	ds_store_2addr_b64 v170, v[134:135], v[177:178] offset0:200 offset1:251
	v_dual_add_f32 v134, v175, v138 :: v_dual_add_f32 v135, v176, v139
	ds_store_2addr_b64 v244, v[128:129], v[130:131] offset1:51
	ds_store_2addr_b64 v169, v[183:184], v[185:186] offset0:100 offset1:151
	v_dual_add_f32 v130, v193, v142 :: v_dual_add_f32 v131, v194, v143
	v_dual_add_f32 v128, v134, v136 :: v_dual_add_f32 v129, v135, v137
	;; [unrolled: 1-line block ×3, first 2 shown]
	v_dual_sub_f32 v138, v147, v149 :: v_dual_sub_f32 v139, v146, v148
	ds_store_2addr_b64 v244, v[128:129], v[130:131] offset0:102 offset1:153
	ds_load_2addr_b64 v[128:131], v244 offset0:204 offset1:255
	v_lshlrev_b32_e32 v183, 3, v3
	s_waitcnt lgkmcnt(0)
	v_fma_f32 v134, -0.5, v134, v128
	v_fma_f32 v135, -0.5, v135, v129
	v_dual_add_f32 v128, v128, v146 :: v_dual_add_f32 v129, v129, v147
	s_delay_alu instid0(VALU_DEP_3) | instskip(NEXT) | instid1(VALU_DEP_2)
	v_fmamk_f32 v136, v138, 0x3f5db3d7, v134
	v_dual_fmamk_f32 v137, v139, 0xbf5db3d7, v135 :: v_dual_add_f32 v128, v128, v148
	s_delay_alu instid0(VALU_DEP_3) | instskip(SKIP_3) | instid1(VALU_DEP_1)
	v_dual_add_f32 v129, v129, v149 :: v_dual_fmac_f32 v134, 0xbf5db3d7, v138
	v_fmac_f32_e32 v135, 0x3f5db3d7, v139
	ds_store_2addr_b64 v169, v[187:188], v[136:137] offset0:202 offset1:253
	v_dual_add_f32 v136, v130, v150 :: v_dual_add_f32 v137, v131, v151
	v_dual_add_f32 v136, v136, v144 :: v_dual_add_f32 v137, v137, v145
	ds_store_2addr_b64 v244, v[128:129], v[136:137] offset0:204 offset1:255
	ds_load_b64 v[128:129], v244 offset:13056
	s_waitcnt lgkmcnt(0)
	v_mul_f32_e32 v136, v129, v127
	v_mul_f32_e32 v176, v128, v127
	s_delay_alu instid0(VALU_DEP_2) | instskip(SKIP_1) | instid1(VALU_DEP_3)
	v_fma_f32 v175, v128, v126, -v136
	v_add_f32_e32 v128, v150, v144
	v_dual_fmac_f32 v176, v129, v126 :: v_dual_sub_f32 v129, v151, v145
	v_sub_f32_e32 v136, v150, v144
	s_delay_alu instid0(VALU_DEP_3) | instskip(SKIP_3) | instid1(VALU_DEP_1)
	v_fma_f32 v130, -0.5, v128, v130
	v_add_f32_e32 v128, v151, v145
	ds_load_2addr_b64 v[148:151], v182 offset0:50 offset1:101
	v_dual_fmac_f32 v131, -0.5, v128 :: v_dual_fmamk_f32 v128, v129, 0x3f5db3d7, v130
	v_dual_fmac_f32 v130, 0xbf5db3d7, v129 :: v_dual_fmamk_f32 v129, v136, 0xbf5db3d7, v131
	v_fmac_f32_e32 v131, 0x3f5db3d7, v136
	ds_store_2addr_b64 v179, v[134:135], v[130:131] offset0:46 offset1:97
	v_add_f32_e32 v134, v158, v159
	s_waitcnt lgkmcnt(1)
	v_dual_sub_f32 v135, v158, v159 :: v_dual_add_f32 v136, v149, v158
	s_delay_alu instid0(VALU_DEP_2) | instskip(SKIP_2) | instid1(VALU_DEP_4)
	v_fma_f32 v147, -0.5, v134, v149
	v_sub_f32_e32 v134, v156, v157
	v_add_f32_e32 v137, v148, v156
	v_add_f32_e32 v139, v136, v159
	s_delay_alu instid0(VALU_DEP_3) | instskip(SKIP_1) | instid1(VALU_DEP_4)
	v_dual_add_f32 v136, v156, v157 :: v_dual_fmamk_f32 v145, v134, 0xbf5db3d7, v147
	v_dual_fmac_f32 v147, 0x3f5db3d7, v134 :: v_dual_add_f32 v134, v154, v141
	v_add_f32_e32 v138, v137, v157
	s_delay_alu instid0(VALU_DEP_3) | instskip(NEXT) | instid1(VALU_DEP_1)
	v_fma_f32 v146, -0.5, v136, v148
	v_fmamk_f32 v144, v135, 0x3f5db3d7, v146
	v_dual_fmac_f32 v146, 0xbf5db3d7, v135 :: v_dual_sub_f32 v135, v154, v141
	ds_store_2addr_b64 v180, v[128:129], v[144:145] offset0:48 offset1:99
	v_dual_add_f32 v128, v132, v167 :: v_dual_add_f32 v129, v133, v173
	s_delay_alu instid0(VALU_DEP_1)
	v_dual_add_f32 v142, v128, v175 :: v_dual_add_f32 v143, v129, v176
	v_dual_add_f32 v128, v153, v140 :: v_dual_add_f32 v129, v150, v153
	ds_store_2addr_b64 v172, v[142:143], v[160:161] offset0:126 offset1:177
	ds_load_2addr_b64 v[159:162], v182 offset0:152 offset1:203
	v_fma_f32 v150, -0.5, v128, v150
	v_add_f32_e32 v128, v151, v154
	v_dual_fmac_f32 v151, -0.5, v134 :: v_dual_add_f32 v156, v129, v140
	v_add_f32_e32 v129, v155, v168
	s_delay_alu instid0(VALU_DEP_4)
	v_fmamk_f32 v158, v135, 0x3f5db3d7, v150
	v_dual_fmac_f32 v150, 0xbf5db3d7, v135 :: v_dual_sub_f32 v135, v155, v168
	v_dual_add_f32 v157, v128, v141 :: v_dual_sub_f32 v128, v153, v140
	v_add_f32_e32 v140, v174, v164
	s_waitcnt lgkmcnt(0)
	v_dual_sub_f32 v141, v174, v164 :: v_dual_add_f32 v134, v160, v155
	v_add_f32_e32 v136, v159, v163
	v_fma_f32 v137, -0.5, v129, v160
	v_sub_f32_e32 v129, v163, v165
	s_delay_alu instid0(VALU_DEP_4) | instskip(NEXT) | instid1(VALU_DEP_4)
	v_dual_add_f32 v155, v134, v168 :: v_dual_add_f32 v134, v163, v165
	v_add_f32_e32 v154, v136, v165
	s_delay_alu instid0(VALU_DEP_2) | instskip(SKIP_3) | instid1(VALU_DEP_4)
	v_fma_f32 v136, -0.5, v134, v159
	v_fmamk_f32 v159, v128, 0xbf5db3d7, v151
	v_fmac_f32_e32 v151, 0x3f5db3d7, v128
	v_add_f32_e32 v128, v166, v152
	v_fmamk_f32 v134, v135, 0x3f5db3d7, v136
	v_dual_fmac_f32 v136, 0xbf5db3d7, v135 :: v_dual_fmamk_f32 v135, v129, 0xbf5db3d7, v137
	v_fmac_f32_e32 v137, 0x3f5db3d7, v129
	v_add_f32_e32 v129, v161, v166
	v_fma_f32 v161, -0.5, v128, v161
	v_add_f32_e32 v128, v162, v174
	v_fmac_f32_e32 v162, -0.5, v140
	v_sub_f32_e32 v140, v173, v176
	v_add_f32_e32 v163, v129, v152
	s_delay_alu instid0(VALU_DEP_4) | instskip(SKIP_2) | instid1(VALU_DEP_3)
	v_dual_add_f32 v129, v167, v175 :: v_dual_add_f32 v164, v128, v164
	v_dual_sub_f32 v128, v166, v152 :: v_dual_fmamk_f32 v165, v141, 0x3f5db3d7, v161
	v_fmac_f32_e32 v161, 0xbf5db3d7, v141
	v_fma_f32 v132, -0.5, v129, v132
	s_delay_alu instid0(VALU_DEP_3) | instskip(SKIP_1) | instid1(VALU_DEP_2)
	v_dual_add_f32 v129, v173, v176 :: v_dual_fmamk_f32 v166, v128, 0xbf5db3d7, v162
	v_fmac_f32_e32 v162, 0x3f5db3d7, v128
	v_dual_fmamk_f32 v148, v140, 0x3f5db3d7, v132 :: v_dual_fmac_f32 v133, -0.5, v129
	v_dual_sub_f32 v129, v167, v175 :: v_dual_fmac_f32 v132, 0xbf5db3d7, v140
	s_delay_alu instid0(VALU_DEP_1)
	v_fmamk_f32 v149, v129, 0xbf5db3d7, v133
	v_fmac_f32_e32 v133, 0x3f5db3d7, v129
	ds_store_2addr_b64 v182, v[138:139], v[156:157] offset0:50 offset1:101
	ds_store_2addr_b64 v179, v[146:147], v[150:151] offset0:148 offset1:199
	;; [unrolled: 1-line block ×6, first 2 shown]
	ds_store_b64 v244, v[132:133] offset:13056
	s_waitcnt lgkmcnt(0)
	s_barrier
	buffer_gl0_inv
	s_clause 0x3
	global_load_b64 v[128:129], v183, s[2:3]
	global_load_b64 v[140:141], v183, s[2:3] offset:792
	global_load_b64 v[152:153], v183, s[2:3] offset:1584
	;; [unrolled: 1-line block ×3, first 2 shown]
	ds_load_2addr_b64 v[173:176], v244 offset1:99
	s_waitcnt vmcnt(3) lgkmcnt(0)
	v_mul_f32_e32 v160, v174, v129
	v_mul_f32_e32 v178, v173, v129
	s_waitcnt vmcnt(2)
	v_mul_f32_e32 v129, v175, v141
	s_delay_alu instid0(VALU_DEP_3) | instskip(NEXT) | instid1(VALU_DEP_3)
	v_fma_f32 v177, v173, v128, -v160
	v_fmac_f32_e32 v178, v174, v128
	v_mul_f32_e32 v128, v176, v141
	s_delay_alu instid0(VALU_DEP_4) | instskip(SKIP_1) | instid1(VALU_DEP_3)
	v_fmac_f32_e32 v129, v176, v140
	v_add_nc_u32_e32 v160, 0x400, v244
	v_fma_f32 v128, v175, v140, -v128
	ds_store_2addr_b64 v244, v[177:178], v[128:129] offset1:99
	ds_load_2addr_b64 v[173:176], v160 offset0:70 offset1:169
	s_waitcnt vmcnt(1) lgkmcnt(0)
	v_mul_f32_e32 v128, v174, v153
	s_waitcnt vmcnt(0)
	v_dual_mul_f32 v178, v175, v168 :: v_dual_mul_f32 v141, v173, v153
	s_delay_alu instid0(VALU_DEP_2) | instskip(SKIP_1) | instid1(VALU_DEP_3)
	v_fma_f32 v140, v173, v152, -v128
	v_mul_f32_e32 v128, v176, v168
	v_dual_fmac_f32 v178, v176, v167 :: v_dual_fmac_f32 v141, v174, v152
	s_delay_alu instid0(VALU_DEP_2) | instskip(SKIP_1) | instid1(VALU_DEP_1)
	v_fma_f32 v177, v175, v167, -v128
	v_add_co_u32 v167, s0, s2, v183
	v_add_co_ci_u32_e64 v168, null, s3, 0, s0
	s_delay_alu instid0(VALU_DEP_2) | instskip(NEXT) | instid1(VALU_DEP_1)
	v_add_co_u32 v152, s0, 0x1000, v167
	v_add_co_ci_u32_e64 v153, s0, 0, v168, s0
	s_clause 0x3
	global_load_b64 v[128:129], v183, s[2:3] offset:3168
	global_load_b64 v[183:184], v183, s[2:3] offset:3960
	global_load_b64 v[185:186], v[152:153], off offset:656
	global_load_b64 v[187:188], v[152:153], off offset:1448
	ds_load_2addr_b64 v[173:176], v182 offset0:140 offset1:239
	s_waitcnt vmcnt(3) lgkmcnt(0)
	v_mul_f32_e32 v189, v174, v129
	v_mul_f32_e32 v190, v173, v129
	s_waitcnt vmcnt(2)
	v_mul_f32_e32 v192, v175, v184
	s_delay_alu instid0(VALU_DEP_3) | instskip(NEXT) | instid1(VALU_DEP_3)
	v_fma_f32 v189, v173, v128, -v189
	v_fmac_f32_e32 v190, v174, v128
	v_mul_f32_e32 v128, v176, v184
	s_delay_alu instid0(VALU_DEP_4) | instskip(NEXT) | instid1(VALU_DEP_2)
	v_fmac_f32_e32 v192, v176, v183
	v_fma_f32 v191, v175, v183, -v128
	ds_load_2addr_b64 v[173:176], v169 offset0:82 offset1:181
	s_waitcnt vmcnt(1) lgkmcnt(0)
	v_mul_f32_e32 v128, v174, v186
	v_mul_f32_e32 v184, v173, v186
	s_waitcnt vmcnt(0)
	v_mul_f32_e32 v186, v175, v188
	s_delay_alu instid0(VALU_DEP_3) | instskip(SKIP_2) | instid1(VALU_DEP_4)
	v_fma_f32 v183, v173, v185, -v128
	v_mul_f32_e32 v128, v176, v188
	v_fmac_f32_e32 v184, v174, v185
	v_fmac_f32_e32 v186, v176, v187
	s_delay_alu instid0(VALU_DEP_3) | instskip(SKIP_1) | instid1(VALU_DEP_1)
	v_fma_f32 v185, v175, v187, -v128
	v_add_co_u32 v128, s0, 0x2000, v167
	v_add_co_ci_u32_e64 v129, s0, 0, v168, s0
	s_clause 0x3
	global_load_b64 v[187:188], v[152:153], off offset:2240
	global_load_b64 v[193:194], v[152:153], off offset:3032
	;; [unrolled: 1-line block ×4, first 2 shown]
	ds_load_2addr_b64 v[173:176], v180 offset0:24 offset1:123
	s_waitcnt vmcnt(3) lgkmcnt(0)
	v_mul_f32_e32 v201, v174, v188
	v_mul_f32_e32 v202, v173, v188
	s_waitcnt vmcnt(2)
	v_mul_f32_e32 v208, v175, v194
	s_delay_alu instid0(VALU_DEP_3) | instskip(NEXT) | instid1(VALU_DEP_3)
	v_fma_f32 v201, v173, v187, -v201
	v_dual_mul_f32 v173, v176, v194 :: v_dual_fmac_f32 v202, v174, v187
	s_delay_alu instid0(VALU_DEP_3) | instskip(NEXT) | instid1(VALU_DEP_2)
	v_fmac_f32_e32 v208, v176, v193
	v_fma_f32 v207, v175, v193, -v173
	ds_load_2addr_b64 v[173:176], v181 offset0:94 offset1:193
	s_waitcnt vmcnt(1) lgkmcnt(0)
	v_mul_f32_e32 v187, v174, v196
	v_mul_f32_e32 v194, v173, v196
	s_waitcnt vmcnt(0)
	v_mul_f32_e32 v196, v175, v198
	s_delay_alu instid0(VALU_DEP_3) | instskip(NEXT) | instid1(VALU_DEP_3)
	v_fma_f32 v193, v173, v195, -v187
	v_dual_mul_f32 v173, v176, v198 :: v_dual_fmac_f32 v194, v174, v195
	s_delay_alu instid0(VALU_DEP_3) | instskip(NEXT) | instid1(VALU_DEP_2)
	v_dual_fmac_f32 v196, v176, v197 :: v_dual_add_nc_u32 v187, 0x2400, v244
	v_fma_f32 v195, v175, v197, -v173
	s_clause 0x3
	global_load_b64 v[197:198], v[128:129], off offset:1312
	global_load_b64 v[209:210], v[128:129], off offset:2104
	;; [unrolled: 1-line block ×4, first 2 shown]
	ds_load_2addr_b64 v[173:176], v187 offset0:36 offset1:135
	s_waitcnt vmcnt(3) lgkmcnt(0)
	v_mul_f32_e32 v188, v174, v198
	v_mul_f32_e32 v216, v173, v198
	s_waitcnt vmcnt(2)
	v_mul_f32_e32 v198, v175, v210
	s_delay_alu instid0(VALU_DEP_3) | instskip(NEXT) | instid1(VALU_DEP_3)
	v_fma_f32 v215, v173, v197, -v188
	v_dual_mul_f32 v173, v176, v210 :: v_dual_fmac_f32 v216, v174, v197
	s_delay_alu instid0(VALU_DEP_3) | instskip(NEXT) | instid1(VALU_DEP_2)
	v_fmac_f32_e32 v198, v176, v209
	v_fma_f32 v197, v175, v209, -v173
	ds_load_2addr_b64 v[173:176], v179 offset0:106 offset1:205
	ds_store_2addr_b64 v160, v[140:141], v[177:178] offset0:70 offset1:169
	ds_store_2addr_b64 v182, v[189:190], v[191:192] offset0:140 offset1:239
	;; [unrolled: 1-line block ×3, first 2 shown]
	v_add_co_u32 v140, s0, 0x3000, v167
	s_delay_alu instid0(VALU_DEP_1) | instskip(SKIP_4) | instid1(VALU_DEP_2)
	v_add_co_ci_u32_e64 v141, s0, 0, v168, s0
	ds_load_b64 v[177:178], v244 offset:12672
	s_waitcnt vmcnt(1) lgkmcnt(4)
	v_mul_f32_e32 v188, v174, v212
	v_mul_f32_e32 v210, v173, v212
	v_fma_f32 v209, v173, v211, -v188
	s_waitcnt vmcnt(0)
	s_delay_alu instid0(VALU_DEP_2) | instskip(SKIP_1) | instid1(VALU_DEP_2)
	v_dual_fmac_f32 v210, v174, v211 :: v_dual_mul_f32 v173, v176, v214
	v_mul_f32_e32 v174, v175, v214
	v_fma_f32 v173, v175, v213, -v173
	s_delay_alu instid0(VALU_DEP_2) | instskip(SKIP_4) | instid1(VALU_DEP_2)
	v_fmac_f32_e32 v174, v176, v213
	global_load_b64 v[175:176], v[140:141], off offset:384
	s_waitcnt vmcnt(0) lgkmcnt(0)
	v_mul_f32_e32 v183, v178, v176
	v_mul_f32_e32 v184, v177, v176
	v_fma_f32 v183, v177, v175, -v183
	s_delay_alu instid0(VALU_DEP_2)
	v_fmac_f32_e32 v184, v178, v175
	ds_store_2addr_b64 v180, v[201:202], v[207:208] offset0:24 offset1:123
	ds_store_2addr_b64 v181, v[193:194], v[195:196] offset0:94 offset1:193
	;; [unrolled: 1-line block ×4, first 2 shown]
	ds_store_b64 v244, v[183:184] offset:12672
	s_and_saveexec_b32 s0, vcc_lo
	s_cbranch_execz .LBB0_9
; %bb.8:
	s_clause 0x9
	global_load_b64 v[177:178], v[167:168], off offset:408
	global_load_b64 v[183:184], v[167:168], off offset:1200
	;; [unrolled: 1-line block ×10, first 2 shown]
	ds_load_2addr_b64 v[173:176], v244 offset0:51 offset1:150
	s_clause 0x1
	global_load_b64 v[201:202], v[128:129], off offset:136
	global_load_b64 v[207:208], v[128:129], off offset:928
	s_waitcnt vmcnt(11) lgkmcnt(0)
	v_mul_f32_e32 v198, v174, v178
	v_mul_f32_e32 v210, v173, v178
	s_delay_alu instid0(VALU_DEP_2) | instskip(SKIP_1) | instid1(VALU_DEP_2)
	v_fma_f32 v209, v173, v177, -v198
	s_waitcnt vmcnt(10)
	v_dual_mul_f32 v173, v176, v184 :: v_dual_fmac_f32 v210, v174, v177
	v_mul_f32_e32 v174, v175, v184
	s_delay_alu instid0(VALU_DEP_2) | instskip(NEXT) | instid1(VALU_DEP_2)
	v_fma_f32 v173, v175, v183, -v173
	v_fmac_f32_e32 v174, v176, v183
	s_clause 0x2
	global_load_b64 v[177:178], v[128:129], off offset:1720
	global_load_b64 v[183:184], v[128:129], off offset:2512
	;; [unrolled: 1-line block ×3, first 2 shown]
	scratch_load_b32 v0, off, off           ; 4-byte Folded Reload
	global_load_b64 v[140:141], v[140:141], off offset:792
	ds_store_2addr_b64 v244, v[209:210], v[173:174] offset0:51 offset1:150
	ds_load_2addr_b64 v[173:176], v160 offset0:121 offset1:220
	s_waitcnt vmcnt(14) lgkmcnt(0)
	v_mul_f32_e32 v198, v174, v186
	v_mul_f32_e32 v210, v173, v186
	s_waitcnt vmcnt(13)
	v_mul_f32_e32 v186, v175, v189
	s_delay_alu instid0(VALU_DEP_3) | instskip(SKIP_2) | instid1(VALU_DEP_4)
	v_fma_f32 v209, v173, v185, -v198
	v_mul_f32_e32 v173, v176, v189
	v_fmac_f32_e32 v210, v174, v185
	v_fmac_f32_e32 v186, v176, v188
	s_delay_alu instid0(VALU_DEP_3)
	v_fma_f32 v185, v175, v188, -v173
	ds_load_2addr_b64 v[173:176], v172 offset0:63 offset1:162
	s_waitcnt vmcnt(12) lgkmcnt(0)
	v_mul_f32_e32 v188, v174, v168
	s_waitcnt vmcnt(11)
	v_dual_mul_f32 v189, v173, v168 :: v_dual_mul_f32 v168, v175, v191
	s_delay_alu instid0(VALU_DEP_2) | instskip(SKIP_1) | instid1(VALU_DEP_3)
	v_fma_f32 v188, v173, v167, -v188
	v_mul_f32_e32 v173, v176, v191
	v_dual_fmac_f32 v189, v174, v167 :: v_dual_fmac_f32 v168, v176, v190
	s_delay_alu instid0(VALU_DEP_2)
	v_fma_f32 v167, v175, v190, -v173
	ds_load_2addr_b64 v[173:176], v169 offset0:133 offset1:232
	s_waitcnt vmcnt(10) lgkmcnt(0)
	v_mul_f32_e32 v190, v174, v193
	v_mul_f32_e32 v191, v173, v193
	s_waitcnt vmcnt(9)
	v_mul_f32_e32 v193, v175, v195
	s_delay_alu instid0(VALU_DEP_3) | instskip(SKIP_2) | instid1(VALU_DEP_4)
	v_fma_f32 v190, v173, v192, -v190
	v_mul_f32_e32 v173, v176, v195
	v_fmac_f32_e32 v191, v174, v192
	v_fmac_f32_e32 v193, v176, v194
	s_delay_alu instid0(VALU_DEP_3)
	v_fma_f32 v192, v175, v194, -v173
	ds_load_2addr_b64 v[173:176], v180 offset0:75 offset1:174
	s_waitcnt vmcnt(8) lgkmcnt(0)
	v_mul_f32_e32 v194, v174, v197
	v_mul_f32_e32 v195, v173, v197
	s_waitcnt vmcnt(7)
	v_mul_f32_e32 v197, v175, v153
	s_delay_alu instid0(VALU_DEP_3) | instskip(SKIP_2) | instid1(VALU_DEP_4)
	v_fma_f32 v194, v173, v196, -v194
	v_mul_f32_e32 v173, v176, v153
	v_fmac_f32_e32 v195, v174, v196
	v_fmac_f32_e32 v197, v176, v152
	s_delay_alu instid0(VALU_DEP_3)
	v_fma_f32 v196, v175, v152, -v173
	ds_load_2addr_b64 v[173:176], v170 offset0:17 offset1:116
	s_waitcnt vmcnt(6) lgkmcnt(0)
	v_mul_f32_e32 v152, v174, v202
	s_waitcnt vmcnt(5)
	v_dual_mul_f32 v153, v173, v202 :: v_dual_mul_f32 v202, v175, v208
	s_delay_alu instid0(VALU_DEP_2) | instskip(SKIP_1) | instid1(VALU_DEP_3)
	v_fma_f32 v152, v173, v201, -v152
	v_mul_f32_e32 v173, v176, v208
	v_dual_fmac_f32 v153, v174, v201 :: v_dual_fmac_f32 v202, v176, v207
	s_delay_alu instid0(VALU_DEP_2)
	v_fma_f32 v201, v175, v207, -v173
	ds_load_2addr_b64 v[173:176], v187 offset0:87 offset1:186
	s_waitcnt vmcnt(4) lgkmcnt(0)
	v_mul_f32_e32 v198, v174, v178
	v_mul_f32_e32 v208, v173, v178
	s_waitcnt vmcnt(3)
	v_mul_f32_e32 v178, v175, v184
	s_delay_alu instid0(VALU_DEP_3) | instskip(NEXT) | instid1(VALU_DEP_3)
	v_fma_f32 v207, v173, v177, -v198
	v_dual_mul_f32 v173, v176, v184 :: v_dual_fmac_f32 v208, v174, v177
	s_delay_alu instid0(VALU_DEP_3) | instskip(NEXT) | instid1(VALU_DEP_2)
	v_fmac_f32_e32 v178, v176, v183
	v_fma_f32 v177, v175, v183, -v173
	ds_load_2addr_b64 v[173:176], v171 offset0:29 offset1:128
	s_waitcnt vmcnt(2) lgkmcnt(0)
	v_mul_f32_e32 v183, v174, v129
	v_mul_f32_e32 v184, v173, v129
	s_waitcnt vmcnt(1)
	v_lshl_or_b32 v129, v0, 3, 0x3000
	s_delay_alu instid0(VALU_DEP_3) | instskip(NEXT) | instid1(VALU_DEP_3)
	v_fma_f32 v183, v173, v128, -v183
	v_fmac_f32_e32 v184, v174, v128
	global_load_b64 v[128:129], v129, s[2:3]
	s_waitcnt vmcnt(0)
	v_mul_f32_e32 v173, v176, v129
	v_mul_f32_e32 v174, v175, v129
	s_delay_alu instid0(VALU_DEP_2) | instskip(NEXT) | instid1(VALU_DEP_2)
	v_fma_f32 v173, v175, v128, -v173
	v_fmac_f32_e32 v174, v176, v128
	ds_load_b64 v[128:129], v244 offset:13080
	s_waitcnt lgkmcnt(0)
	v_mul_f32_e32 v175, v129, v141
	v_mul_f32_e32 v176, v128, v141
	s_delay_alu instid0(VALU_DEP_2) | instskip(NEXT) | instid1(VALU_DEP_2)
	v_fma_f32 v175, v128, v140, -v175
	v_fmac_f32_e32 v176, v129, v140
	ds_store_2addr_b64 v160, v[209:210], v[185:186] offset0:121 offset1:220
	ds_store_2addr_b64 v172, v[188:189], v[167:168] offset0:63 offset1:162
	;; [unrolled: 1-line block ×7, first 2 shown]
	ds_store_b64 v244, v[175:176] offset:13080
.LBB0_9:
	s_or_b32 exec_lo, exec_lo, s0
	s_waitcnt lgkmcnt(0)
	s_barrier
	buffer_gl0_inv
	ds_load_2addr_b64 v[171:174], v244 offset1:99
	ds_load_2addr_b64 v[175:178], v160 offset0:70 offset1:169
	ds_load_2addr_b64 v[183:186], v182 offset0:140 offset1:239
	;; [unrolled: 1-line block ×7, first 2 shown]
	ds_load_b64 v[128:129], v244 offset:12672
	s_and_saveexec_b32 s0, vcc_lo
	s_cbranch_execz .LBB0_11
; %bb.10:
	ds_load_2addr_b64 v[136:139], v244 offset0:51 offset1:150
	v_add_nc_u32_e32 v130, 0x2400, v244
	v_add_nc_u32_e32 v131, 0x2c00, v244
	;; [unrolled: 1-line block ×4, first 2 shown]
	ds_load_2addr_b64 v[140:143], v130 offset0:87 offset1:186
	ds_load_2addr_b64 v[148:151], v131 offset0:29 offset1:128
	;; [unrolled: 1-line block ×3, first 2 shown]
	v_add_nc_u32_e32 v134, 0xc00, v244
	v_add_nc_u32_e32 v130, 0x400, v244
	;; [unrolled: 1-line block ×3, first 2 shown]
	s_waitcnt lgkmcnt(3)
	v_mov_b32_e32 v131, v137
	s_waitcnt lgkmcnt(1)
	v_dual_mov_b32 v162, v141 :: v_dual_mov_b32 v133, v151
	ds_load_b64 v[242:243], v244 offset:13080
	ds_load_2addr_b64 v[144:147], v130 offset0:121 offset1:220
	s_waitcnt lgkmcnt(2)
	v_dual_mov_b32 v130, v136 :: v_dual_mov_b32 v151, v153
	ds_load_2addr_b64 v[156:159], v134 offset0:63 offset1:162
	ds_load_2addr_b64 v[134:137], v135 offset0:75 offset1:174
	;; [unrolled: 1-line block ×3, first 2 shown]
	v_dual_mov_b32 v161, v140 :: v_dual_mov_b32 v132, v150
	v_mov_b32_e32 v150, v152
.LBB0_11:
	s_or_b32 exec_lo, exec_lo, s0
	s_waitcnt lgkmcnt(8)
	v_dual_add_f32 v140, v171, v173 :: v_dual_add_f32 v141, v172, v174
	s_waitcnt lgkmcnt(3)
	v_dual_sub_f32 v253, v196, v194 :: v_dual_add_f32 v160, v193, v195
	v_dual_sub_f32 v201, v195, v193 :: v_dual_sub_f32 v202, v198, v192
	s_delay_alu instid0(VALU_DEP_3)
	v_dual_add_f32 v140, v140, v175 :: v_dual_add_f32 v141, v141, v176
	s_waitcnt lgkmcnt(2)
	v_sub_f32_e32 v208, v184, v190
	s_waitcnt lgkmcnt(0)
	s_barrier
	v_dual_add_f32 v140, v140, v177 :: v_dual_add_f32 v141, v141, v178
	buffer_gl0_inv
	v_dual_add_f32 v140, v140, v183 :: v_dual_add_f32 v141, v141, v184
	s_delay_alu instid0(VALU_DEP_1) | instskip(NEXT) | instid1(VALU_DEP_1)
	v_dual_add_f32 v140, v140, v185 :: v_dual_add_f32 v141, v141, v186
	v_dual_add_f32 v140, v140, v195 :: v_dual_add_f32 v141, v141, v196
	s_delay_alu instid0(VALU_DEP_1) | instskip(NEXT) | instid1(VALU_DEP_2)
	v_dual_sub_f32 v195, v197, v191 :: v_dual_add_f32 v140, v140, v197
	v_add_f32_e32 v141, v141, v198
	v_add_f32_e32 v198, v192, v198
	s_delay_alu instid0(VALU_DEP_2) | instskip(SKIP_1) | instid1(VALU_DEP_2)
	v_dual_add_f32 v140, v140, v167 :: v_dual_add_f32 v141, v141, v168
	v_dual_add_f32 v207, v194, v196 :: v_dual_add_f32 v196, v191, v197
	;; [unrolled: 1-line block ×3, first 2 shown]
	s_delay_alu instid0(VALU_DEP_1) | instskip(SKIP_2) | instid1(VALU_DEP_3)
	v_dual_add_f32 v140, v140, v191 :: v_dual_add_f32 v141, v141, v192
	v_add_f32_e32 v197, v190, v184
	v_dual_add_f32 v191, v189, v183 :: v_dual_sub_f32 v192, v183, v189
	v_dual_add_f32 v140, v140, v193 :: v_dual_add_f32 v141, v141, v194
	v_dual_sub_f32 v193, v186, v188 :: v_dual_add_f32 v186, v188, v186
	v_dual_add_f32 v183, v187, v185 :: v_dual_sub_f32 v184, v185, v187
	s_delay_alu instid0(VALU_DEP_3) | instskip(SKIP_2) | instid1(VALU_DEP_3)
	v_dual_add_f32 v140, v140, v187 :: v_dual_add_f32 v141, v141, v188
	v_add_f32_e32 v188, v182, v176
	v_dual_sub_f32 v194, v176, v182 :: v_dual_add_f32 v185, v181, v175
	v_dual_add_f32 v140, v140, v189 :: v_dual_sub_f32 v189, v178, v180
	s_delay_alu instid0(VALU_DEP_4) | instskip(SKIP_2) | instid1(VALU_DEP_3)
	v_dual_add_f32 v141, v141, v190 :: v_dual_sub_f32 v152, v174, v129
	v_dual_sub_f32 v187, v175, v181 :: v_dual_add_f32 v178, v180, v178
	v_dual_add_f32 v175, v179, v177 :: v_dual_sub_f32 v176, v177, v179
	v_dual_add_f32 v141, v141, v180 :: v_dual_add_f32 v140, v140, v179
	s_delay_alu instid0(VALU_DEP_4) | instskip(SKIP_2) | instid1(VALU_DEP_4)
	v_mul_f32_e32 v177, 0xbeb8f4ab, v152
	v_dual_add_f32 v153, v128, v173 :: v_dual_mul_f32 v180, 0xbf65296c, v152
	v_sub_f32_e32 v173, v173, v128
	v_dual_mul_f32 v179, 0xbf2c7751, v152 :: v_dual_add_f32 v140, v140, v181
	v_add_f32_e32 v141, v141, v182
	s_delay_alu instid0(VALU_DEP_4) | instskip(SKIP_1) | instid1(VALU_DEP_4)
	v_fmamk_f32 v181, v153, 0x3f6eb680, v177
	v_fma_f32 v177, 0x3f6eb680, v153, -v177
	v_fmamk_f32 v182, v153, 0x3f3d2fb0, v179
	v_mul_f32_e32 v209, 0xbf7ee86f, v152
	v_mul_f32_e32 v211, 0xbf763a35, v152
	;; [unrolled: 1-line block ×5, first 2 shown]
	v_fma_f32 v179, 0x3f3d2fb0, v153, -v179
	v_fmamk_f32 v190, v153, 0x3ee437d1, v180
	v_fma_f32 v180, 0x3ee437d1, v153, -v180
	v_fmamk_f32 v210, v153, 0x3dbcf732, v209
	;; [unrolled: 2-line block ×5, first 2 shown]
	v_fma_f32 v152, 0xbf7ba420, v153, -v152
	v_add_f32_e32 v226, v171, v177
	v_fmamk_f32 v212, v153, 0xbe8c1d8e, v211
	v_fma_f32 v211, 0xbe8c1d8e, v153, -v211
	v_dual_add_f32 v153, v129, v174 :: v_dual_add_f32 v234, v171, v180
	v_add_f32_e32 v230, v171, v179
	v_dual_add_f32 v179, v171, v221 :: v_dual_add_f32 v128, v140, v128
	s_delay_alu instid0(VALU_DEP_3)
	v_mul_f32_e32 v214, 0x3f3d2fb0, v153
	v_mul_f32_e32 v174, 0x3f6eb680, v153
	v_mul_f32_e32 v223, 0x3dbcf732, v153
	v_mul_f32_e32 v225, 0xbe8c1d8e, v153
	v_dual_mul_f32 v216, 0x3ee437d1, v153 :: v_dual_add_f32 v239, v171, v212
	v_fmamk_f32 v215, v173, 0x3f2c7751, v214
	v_fmac_f32_e32 v214, 0xbf2c7751, v173
	v_mul_f32_e32 v247, 0xbf1a4643, v153
	v_fmamk_f32 v213, v173, 0x3eb8f4ab, v174
	v_fmac_f32_e32 v174, 0xbeb8f4ab, v173
	v_fmamk_f32 v217, v173, 0x3f65296c, v216
	v_fmamk_f32 v224, v173, 0x3f7ee86f, v223
	;; [unrolled: 1-line block ×3, first 2 shown]
	v_fmac_f32_e32 v247, 0xbf4c4adb, v173
	v_add_f32_e32 v231, v172, v214
	v_add_f32_e32 v214, v171, v218
	v_fmac_f32_e32 v216, 0xbf65296c, v173
	v_mul_f32_e32 v248, 0xbf59a7d5, v153
	v_mul_f32_e32 v153, 0xbf7ba420, v153
	v_add_f32_e32 v233, v172, v217
	v_dual_fmamk_f32 v245, v173, 0x3f763a35, v225 :: v_dual_add_f32 v224, v172, v224
	v_dual_fmac_f32 v223, 0xbf7ee86f, v173 :: v_dual_add_f32 v236, v171, v210
	s_delay_alu instid0(VALU_DEP_2) | instskip(NEXT) | instid1(VALU_DEP_2)
	v_dual_fmamk_f32 v254, v173, 0x3e3c28d5, v153 :: v_dual_add_f32 v217, v172, v245
	v_dual_fmac_f32 v225, 0xbf763a35, v173 :: v_dual_add_f32 v238, v172, v223
	v_fmac_f32_e32 v153, 0xbe3c28d5, v173
	v_add_f32_e32 v255, v171, v181
	v_add_f32_e32 v227, v172, v174
	;; [unrolled: 1-line block ×3, first 2 shown]
	v_dual_add_f32 v232, v171, v190 :: v_dual_add_f32 v235, v172, v216
	v_dual_fmamk_f32 v250, v173, 0x3f06c442, v248 :: v_dual_add_f32 v237, v171, v209
	v_dual_fmac_f32 v248, 0xbf06c442, v173 :: v_dual_add_f32 v173, v172, v254
	v_dual_add_f32 v190, v170, v168 :: v_dual_add_f32 v129, v141, v129
	v_sub_f32_e32 v182, v168, v170
	v_dual_add_f32 v180, v169, v167 :: v_dual_sub_f32 v181, v167, v169
	v_mul_f32_e32 v140, 0xbf2c7751, v194
	v_mul_f32_e32 v167, 0x3f3d2fb0, v188
	;; [unrolled: 1-line block ×3, first 2 shown]
	v_add_f32_e32 v252, v172, v213
	v_add_f32_e32 v229, v172, v215
	v_dual_add_f32 v216, v171, v211 :: v_dual_add_f32 v215, v172, v225
	v_dual_add_f32 v212, v171, v219 :: v_dual_add_f32 v213, v172, v249
	;; [unrolled: 1-line block ×3, first 2 shown]
	v_add_f32_e32 v209, v172, v250
	v_dual_add_f32 v177, v172, v248 :: v_dual_add_f32 v174, v171, v222
	v_dual_add_f32 v171, v171, v152 :: v_dual_add_f32 v172, v172, v153
	v_fmamk_f32 v153, v175, 0x3ee437d1, v168
	v_fmamk_f32 v152, v187, 0x3f2c7751, v167
	;; [unrolled: 1-line block ×3, first 2 shown]
	v_mul_f32_e32 v218, 0x3dbcf732, v197
	v_mul_f32_e32 v219, 0xbf763a35, v193
	;; [unrolled: 1-line block ×3, first 2 shown]
	s_delay_alu instid0(VALU_DEP_4)
	v_dual_add_f32 v152, v152, v252 :: v_dual_add_f32 v141, v141, v255
	v_mul_f32_e32 v169, 0x3ee437d1, v178
	v_fma_f32 v140, 0x3f3d2fb0, v185, -v140
	v_mul_f32_e32 v221, 0xbf4c4adb, v253
	v_mul_f32_e32 v222, 0xbf1a4643, v207
	;; [unrolled: 1-line block ×4, first 2 shown]
	v_dual_add_f32 v140, v140, v226 :: v_dual_add_f32 v141, v153, v141
	v_fmamk_f32 v153, v176, 0x3f65296c, v169
	v_mul_f32_e32 v170, 0xbf7ee86f, v208
	s_delay_alu instid0(VALU_DEP_2) | instskip(NEXT) | instid1(VALU_DEP_2)
	v_dual_mul_f32 v225, 0xbf59a7d5, v198 :: v_dual_add_f32 v152, v153, v152
	v_fmamk_f32 v153, v191, 0x3dbcf732, v170
	s_delay_alu instid0(VALU_DEP_1) | instskip(SKIP_2) | instid1(VALU_DEP_2)
	v_add_f32_e32 v141, v153, v141
	v_fmamk_f32 v153, v192, 0x3f7ee86f, v218
	v_fmac_f32_e32 v218, 0xbf7ee86f, v192
	v_dual_add_f32 v152, v153, v152 :: v_dual_fmamk_f32 v153, v183, 0xbe8c1d8e, v219
	s_delay_alu instid0(VALU_DEP_1) | instskip(SKIP_2) | instid1(VALU_DEP_2)
	v_add_f32_e32 v141, v153, v141
	v_fmamk_f32 v153, v184, 0x3f763a35, v220
	v_fmac_f32_e32 v220, 0xbf763a35, v184
	v_dual_add_f32 v152, v153, v152 :: v_dual_fmamk_f32 v153, v160, 0xbf1a4643, v221
	;; [unrolled: 5-line block ×3, first 2 shown]
	s_delay_alu instid0(VALU_DEP_1) | instskip(SKIP_1) | instid1(VALU_DEP_1)
	v_add_f32_e32 v141, v153, v141
	v_fmamk_f32 v153, v195, 0x3f06c442, v225
	v_add_f32_e32 v153, v153, v152
	v_fma_f32 v168, 0x3ee437d1, v175, -v168
	s_delay_alu instid0(VALU_DEP_1) | instskip(SKIP_2) | instid1(VALU_DEP_2)
	v_add_f32_e32 v140, v168, v140
	v_fma_f32 v168, 0x3dbcf732, v191, -v170
	v_mul_f32_e32 v170, 0x3dbcf732, v188
	v_add_f32_e32 v140, v168, v140
	v_fma_f32 v168, 0xbe8c1d8e, v183, -v219
	s_delay_alu instid0(VALU_DEP_1) | instskip(SKIP_1) | instid1(VALU_DEP_1)
	v_add_f32_e32 v140, v168, v140
	v_fma_f32 v168, 0xbf1a4643, v160, -v221
	v_add_f32_e32 v140, v168, v140
	v_fma_f32 v168, 0xbf59a7d5, v196, -v223
	s_delay_alu instid0(VALU_DEP_1) | instskip(SKIP_2) | instid1(VALU_DEP_2)
	v_add_f32_e32 v140, v168, v140
	v_fmamk_f32 v152, v180, 0xbf7ba420, v245
	v_fma_f32 v168, 0xbf7ba420, v180, -v245
	v_dual_add_f32 v152, v152, v141 :: v_dual_mul_f32 v141, 0xbf7ba420, v190
	s_delay_alu instid0(VALU_DEP_2)
	v_add_f32_e32 v140, v168, v140
	v_fmamk_f32 v168, v187, 0x3f7ee86f, v170
	v_fmac_f32_e32 v170, 0xbf7ee86f, v187
	v_fmac_f32_e32 v169, 0xbf65296c, v176
	v_fmamk_f32 v247, v181, 0x3e3c28d5, v141
	v_fmac_f32_e32 v141, 0xbe3c28d5, v181
	v_dual_add_f32 v168, v168, v229 :: v_dual_fmac_f32 v167, 0xbf2c7751, v187
	s_delay_alu instid0(VALU_DEP_3) | instskip(SKIP_1) | instid1(VALU_DEP_3)
	v_dual_add_f32 v170, v170, v231 :: v_dual_add_f32 v153, v247, v153
	v_fmac_f32_e32 v225, 0xbf06c442, v195
	v_add_f32_e32 v167, v167, v227
	s_delay_alu instid0(VALU_DEP_1) | instskip(SKIP_1) | instid1(VALU_DEP_2)
	v_add_f32_e32 v167, v169, v167
	v_mul_f32_e32 v169, 0xbf7ee86f, v194
	v_dual_add_f32 v167, v218, v167 :: v_dual_mul_f32 v218, 0xbf4c4adb, v189
	s_delay_alu instid0(VALU_DEP_1) | instskip(NEXT) | instid1(VALU_DEP_2)
	v_add_f32_e32 v167, v220, v167
	v_fmamk_f32 v219, v175, 0xbf1a4643, v218
	v_fma_f32 v218, 0xbf1a4643, v175, -v218
	s_delay_alu instid0(VALU_DEP_3) | instskip(NEXT) | instid1(VALU_DEP_1)
	v_add_f32_e32 v167, v222, v167
	v_add_f32_e32 v167, v225, v167
	s_delay_alu instid0(VALU_DEP_1) | instskip(SKIP_2) | instid1(VALU_DEP_2)
	v_add_f32_e32 v141, v141, v167
	v_fmamk_f32 v167, v185, 0x3dbcf732, v169
	v_fma_f32 v169, 0x3dbcf732, v185, -v169
	v_add_f32_e32 v167, v167, v228
	s_delay_alu instid0(VALU_DEP_2) | instskip(NEXT) | instid1(VALU_DEP_2)
	v_add_f32_e32 v169, v169, v230
	v_add_f32_e32 v167, v219, v167
	v_mul_f32_e32 v219, 0xbf1a4643, v178
	s_delay_alu instid0(VALU_DEP_1) | instskip(NEXT) | instid1(VALU_DEP_1)
	v_dual_add_f32 v169, v218, v169 :: v_dual_fmamk_f32 v220, v176, 0x3f4c4adb, v219
	v_add_f32_e32 v168, v220, v168
	v_mul_f32_e32 v220, 0xbe3c28d5, v208
	s_delay_alu instid0(VALU_DEP_1) | instskip(SKIP_1) | instid1(VALU_DEP_2)
	v_fmamk_f32 v221, v191, 0xbf7ba420, v220
	v_fma_f32 v218, 0xbf7ba420, v191, -v220
	v_dual_mul_f32 v220, 0xbf4c4adb, v194 :: v_dual_add_f32 v167, v221, v167
	v_mul_f32_e32 v221, 0xbf7ba420, v197
	s_delay_alu instid0(VALU_DEP_1) | instskip(NEXT) | instid1(VALU_DEP_1)
	v_dual_add_f32 v169, v218, v169 :: v_dual_fmamk_f32 v222, v192, 0x3e3c28d5, v221
	v_add_f32_e32 v168, v222, v168
	v_mul_f32_e32 v222, 0x3f06c442, v193
	s_delay_alu instid0(VALU_DEP_1) | instskip(SKIP_1) | instid1(VALU_DEP_2)
	v_fmamk_f32 v223, v183, 0xbf59a7d5, v222
	v_fma_f32 v218, 0xbf59a7d5, v183, -v222
	v_add_f32_e32 v167, v223, v167
	v_mul_f32_e32 v223, 0xbf59a7d5, v186
	s_delay_alu instid0(VALU_DEP_3) | instskip(NEXT) | instid1(VALU_DEP_2)
	v_add_f32_e32 v169, v218, v169
	v_fmamk_f32 v225, v184, 0xbf06c442, v223
	v_fmac_f32_e32 v223, 0x3f06c442, v184
	s_delay_alu instid0(VALU_DEP_2) | instskip(NEXT) | instid1(VALU_DEP_1)
	v_dual_add_f32 v168, v225, v168 :: v_dual_mul_f32 v225, 0x3f763a35, v253
	v_fmamk_f32 v226, v160, 0xbe8c1d8e, v225
	v_fma_f32 v218, 0xbe8c1d8e, v160, -v225
	s_delay_alu instid0(VALU_DEP_2) | instskip(NEXT) | instid1(VALU_DEP_2)
	v_add_f32_e32 v167, v226, v167
	v_dual_mul_f32 v226, 0xbe8c1d8e, v207 :: v_dual_add_f32 v169, v218, v169
	s_delay_alu instid0(VALU_DEP_1) | instskip(SKIP_1) | instid1(VALU_DEP_2)
	v_fmamk_f32 v227, v201, 0xbf763a35, v226
	v_fmac_f32_e32 v226, 0x3f763a35, v201
	v_dual_add_f32 v168, v227, v168 :: v_dual_mul_f32 v227, 0x3f65296c, v202
	s_delay_alu instid0(VALU_DEP_1) | instskip(NEXT) | instid1(VALU_DEP_1)
	v_fmamk_f32 v228, v196, 0x3ee437d1, v227
	v_dual_add_f32 v167, v228, v167 :: v_dual_mul_f32 v228, 0x3ee437d1, v198
	s_delay_alu instid0(VALU_DEP_1) | instskip(SKIP_2) | instid1(VALU_DEP_3)
	v_fmamk_f32 v229, v195, 0xbf65296c, v228
	v_fmac_f32_e32 v228, 0x3f65296c, v195
	v_fma_f32 v218, 0x3ee437d1, v196, -v227
	v_dual_add_f32 v168, v229, v168 :: v_dual_mul_f32 v229, 0x3eb8f4ab, v182
	s_delay_alu instid0(VALU_DEP_2) | instskip(NEXT) | instid1(VALU_DEP_2)
	v_add_f32_e32 v169, v218, v169
	v_fma_f32 v218, 0x3f6eb680, v180, -v229
	s_delay_alu instid0(VALU_DEP_1) | instskip(SKIP_3) | instid1(VALU_DEP_4)
	v_dual_add_f32 v169, v218, v169 :: v_dual_fmamk_f32 v218, v185, 0xbf1a4643, v220
	v_fmac_f32_e32 v219, 0xbf4c4adb, v176
	v_fma_f32 v220, 0xbf1a4643, v185, -v220
	v_fmac_f32_e32 v221, 0xbe3c28d5, v192
	v_add_f32_e32 v218, v218, v232
	s_delay_alu instid0(VALU_DEP_4) | instskip(NEXT) | instid1(VALU_DEP_4)
	v_add_f32_e32 v170, v219, v170
	v_add_f32_e32 v220, v220, v234
	s_delay_alu instid0(VALU_DEP_2) | instskip(NEXT) | instid1(VALU_DEP_1)
	v_dual_add_f32 v170, v221, v170 :: v_dual_mul_f32 v221, 0xbf1a4643, v188
	v_add_f32_e32 v170, v223, v170
	s_delay_alu instid0(VALU_DEP_1) | instskip(NEXT) | instid1(VALU_DEP_1)
	v_dual_fmamk_f32 v219, v187, 0x3f4c4adb, v221 :: v_dual_add_f32 v170, v226, v170
	v_add_f32_e32 v219, v219, v233
	v_mul_f32_e32 v222, 0x3e3c28d5, v189
	s_delay_alu instid0(VALU_DEP_1) | instskip(NEXT) | instid1(VALU_DEP_1)
	v_dual_add_f32 v170, v228, v170 :: v_dual_fmamk_f32 v223, v175, 0xbf7ba420, v222
	v_add_f32_e32 v218, v223, v218
	v_mul_f32_e32 v223, 0xbf7ba420, v178
	s_delay_alu instid0(VALU_DEP_1) | instskip(NEXT) | instid1(VALU_DEP_1)
	v_fmamk_f32 v225, v176, 0xbe3c28d5, v223
	v_add_f32_e32 v219, v225, v219
	v_mul_f32_e32 v225, 0x3f763a35, v208
	v_fma_f32 v222, 0xbf7ba420, v175, -v222
	s_delay_alu instid0(VALU_DEP_2) | instskip(NEXT) | instid1(VALU_DEP_2)
	v_fmamk_f32 v226, v191, 0xbe8c1d8e, v225
	v_add_f32_e32 v220, v222, v220
	v_fma_f32 v222, 0xbe8c1d8e, v191, -v225
	v_mul_f32_e32 v225, 0xbe3c28d5, v194
	s_delay_alu instid0(VALU_DEP_4) | instskip(SKIP_1) | instid1(VALU_DEP_4)
	v_add_f32_e32 v218, v226, v218
	v_mul_f32_e32 v226, 0xbe8c1d8e, v197
	v_dual_add_f32 v220, v222, v220 :: v_dual_fmamk_f32 v245, v180, 0x3f6eb680, v229
	s_delay_alu instid0(VALU_DEP_2) | instskip(NEXT) | instid1(VALU_DEP_1)
	v_fmamk_f32 v227, v192, 0xbf763a35, v226
	v_add_f32_e32 v219, v227, v219
	v_mul_f32_e32 v227, 0x3f2c7751, v193
	v_fmac_f32_e32 v226, 0x3f763a35, v192
	s_delay_alu instid0(VALU_DEP_2) | instskip(NEXT) | instid1(VALU_DEP_1)
	v_fmamk_f32 v228, v183, 0x3f3d2fb0, v227
	v_add_f32_e32 v218, v228, v218
	v_mul_f32_e32 v228, 0x3f3d2fb0, v186
	s_delay_alu instid0(VALU_DEP_1) | instskip(SKIP_2) | instid1(VALU_DEP_3)
	v_fmamk_f32 v229, v184, 0xbf2c7751, v228
	v_fmac_f32_e32 v228, 0x3f2c7751, v184
	v_fma_f32 v222, 0x3f3d2fb0, v183, -v227
	v_add_f32_e32 v219, v229, v219
	s_delay_alu instid0(VALU_DEP_2) | instskip(NEXT) | instid1(VALU_DEP_1)
	v_dual_mul_f32 v229, 0xbeb8f4ab, v253 :: v_dual_add_f32 v220, v222, v220
	v_fmamk_f32 v230, v160, 0x3f6eb680, v229
	v_fma_f32 v222, 0x3f6eb680, v160, -v229
	s_delay_alu instid0(VALU_DEP_2) | instskip(SKIP_1) | instid1(VALU_DEP_1)
	v_add_f32_e32 v218, v230, v218
	v_mul_f32_e32 v230, 0x3f6eb680, v207
	v_dual_add_f32 v220, v222, v220 :: v_dual_fmamk_f32 v231, v201, 0x3eb8f4ab, v230
	s_delay_alu instid0(VALU_DEP_1) | instskip(SKIP_3) | instid1(VALU_DEP_3)
	v_dual_fmac_f32 v230, 0xbeb8f4ab, v201 :: v_dual_add_f32 v219, v231, v219
	v_mul_f32_e32 v231, 0xbf7ee86f, v202
	v_add_f32_e32 v167, v245, v167
	v_mul_f32_e32 v245, 0x3f6eb680, v190
	v_fmamk_f32 v232, v196, 0x3dbcf732, v231
	s_delay_alu instid0(VALU_DEP_1) | instskip(SKIP_1) | instid1(VALU_DEP_2)
	v_dual_fmamk_f32 v247, v181, 0xbeb8f4ab, v245 :: v_dual_add_f32 v218, v232, v218
	v_mul_f32_e32 v232, 0x3dbcf732, v198
	v_add_f32_e32 v168, v247, v168
	s_delay_alu instid0(VALU_DEP_2) | instskip(SKIP_3) | instid1(VALU_DEP_4)
	v_fmamk_f32 v233, v195, 0x3f7ee86f, v232
	v_fmac_f32_e32 v232, 0xbf7ee86f, v195
	v_fma_f32 v222, 0x3dbcf732, v196, -v231
	v_fmac_f32_e32 v245, 0x3eb8f4ab, v181
	v_add_f32_e32 v219, v233, v219
	s_delay_alu instid0(VALU_DEP_3) | instskip(NEXT) | instid1(VALU_DEP_3)
	v_dual_mul_f32 v233, 0xbf06c442, v182 :: v_dual_add_f32 v220, v222, v220
	v_add_f32_e32 v170, v245, v170
	s_delay_alu instid0(VALU_DEP_2) | instskip(NEXT) | instid1(VALU_DEP_1)
	v_fma_f32 v222, 0xbf59a7d5, v180, -v233
	v_add_f32_e32 v220, v222, v220
	v_fmamk_f32 v222, v185, 0xbf7ba420, v225
	v_fma_f32 v225, 0xbf7ba420, v185, -v225
	s_delay_alu instid0(VALU_DEP_1) | instskip(SKIP_2) | instid1(VALU_DEP_2)
	v_dual_add_f32 v222, v222, v236 :: v_dual_add_f32 v225, v225, v237
	v_fmac_f32_e32 v221, 0xbf4c4adb, v187
	v_fmac_f32_e32 v223, 0x3e3c28d5, v176
	v_add_f32_e32 v221, v221, v235
	s_delay_alu instid0(VALU_DEP_1) | instskip(NEXT) | instid1(VALU_DEP_1)
	v_add_f32_e32 v221, v223, v221
	v_dual_add_f32 v221, v226, v221 :: v_dual_mul_f32 v226, 0xbf7ba420, v188
	s_delay_alu instid0(VALU_DEP_1) | instskip(NEXT) | instid1(VALU_DEP_2)
	v_add_f32_e32 v221, v228, v221
	v_fmamk_f32 v223, v187, 0x3e3c28d5, v226
	s_delay_alu instid0(VALU_DEP_2) | instskip(NEXT) | instid1(VALU_DEP_2)
	v_dual_fmac_f32 v226, 0xbe3c28d5, v187 :: v_dual_add_f32 v221, v230, v221
	v_dual_add_f32 v223, v223, v224 :: v_dual_mul_f32 v224, 0x3f763a35, v189
	s_delay_alu instid0(VALU_DEP_2) | instskip(NEXT) | instid1(VALU_DEP_2)
	v_dual_add_f32 v226, v226, v238 :: v_dual_add_f32 v221, v232, v221
	v_fmamk_f32 v227, v175, 0xbe8c1d8e, v224
	v_fma_f32 v224, 0xbe8c1d8e, v175, -v224
	s_delay_alu instid0(VALU_DEP_2) | instskip(NEXT) | instid1(VALU_DEP_2)
	v_add_f32_e32 v222, v227, v222
	v_dual_mul_f32 v227, 0xbe8c1d8e, v178 :: v_dual_add_f32 v224, v224, v225
	s_delay_alu instid0(VALU_DEP_1) | instskip(SKIP_1) | instid1(VALU_DEP_2)
	v_fmamk_f32 v228, v176, 0xbf763a35, v227
	v_fmac_f32_e32 v227, 0x3f763a35, v176
	v_dual_add_f32 v223, v228, v223 :: v_dual_mul_f32 v228, 0x3eb8f4ab, v208
	s_delay_alu instid0(VALU_DEP_2) | instskip(NEXT) | instid1(VALU_DEP_2)
	v_add_f32_e32 v225, v227, v226
	v_fmamk_f32 v229, v191, 0x3f6eb680, v228
	v_fma_f32 v226, 0x3f6eb680, v191, -v228
	s_delay_alu instid0(VALU_DEP_2) | instskip(NEXT) | instid1(VALU_DEP_2)
	v_dual_add_f32 v222, v229, v222 :: v_dual_mul_f32 v229, 0x3f6eb680, v197
	v_add_f32_e32 v224, v226, v224
	s_delay_alu instid0(VALU_DEP_2) | instskip(SKIP_1) | instid1(VALU_DEP_2)
	v_fmamk_f32 v230, v192, 0xbeb8f4ab, v229
	v_fmac_f32_e32 v229, 0x3eb8f4ab, v192
	v_dual_add_f32 v223, v230, v223 :: v_dual_mul_f32 v230, 0xbf65296c, v193
	s_delay_alu instid0(VALU_DEP_1) | instskip(SKIP_1) | instid1(VALU_DEP_2)
	v_fmamk_f32 v231, v183, 0x3ee437d1, v230
	v_fma_f32 v226, 0x3ee437d1, v183, -v230
	v_add_f32_e32 v222, v231, v222
	s_delay_alu instid0(VALU_DEP_2) | instskip(NEXT) | instid1(VALU_DEP_1)
	v_dual_mul_f32 v231, 0x3ee437d1, v186 :: v_dual_add_f32 v224, v226, v224
	v_fmamk_f32 v232, v184, 0x3f65296c, v231
	v_fmac_f32_e32 v231, 0xbf65296c, v184
	s_delay_alu instid0(VALU_DEP_2) | instskip(SKIP_1) | instid1(VALU_DEP_1)
	v_dual_add_f32 v223, v232, v223 :: v_dual_mul_f32 v232, 0xbf06c442, v253
	v_fmamk_f32 v245, v180, 0xbf59a7d5, v233
	v_dual_fmamk_f32 v233, v160, 0xbf59a7d5, v232 :: v_dual_add_f32 v218, v245, v218
	v_mul_f32_e32 v245, 0xbf59a7d5, v190
	v_fma_f32 v226, 0xbf59a7d5, v160, -v232
	s_delay_alu instid0(VALU_DEP_3) | instskip(NEXT) | instid1(VALU_DEP_2)
	v_dual_add_f32 v222, v233, v222 :: v_dual_mul_f32 v233, 0xbf59a7d5, v207
	v_dual_fmamk_f32 v247, v181, 0x3f06c442, v245 :: v_dual_add_f32 v224, v226, v224
	s_delay_alu instid0(VALU_DEP_1) | instskip(SKIP_1) | instid1(VALU_DEP_2)
	v_dual_fmamk_f32 v234, v201, 0x3f06c442, v233 :: v_dual_add_f32 v219, v247, v219
	v_fmac_f32_e32 v233, 0xbf06c442, v201
	v_dual_add_f32 v223, v234, v223 :: v_dual_mul_f32 v234, 0x3f4c4adb, v202
	s_delay_alu instid0(VALU_DEP_1) | instskip(SKIP_1) | instid1(VALU_DEP_2)
	v_fmamk_f32 v235, v196, 0xbf1a4643, v234
	v_fma_f32 v226, 0xbf1a4643, v196, -v234
	v_dual_fmac_f32 v245, 0xbf06c442, v181 :: v_dual_add_f32 v222, v235, v222
	s_delay_alu instid0(VALU_DEP_2) | instskip(NEXT) | instid1(VALU_DEP_1)
	v_dual_add_f32 v224, v226, v224 :: v_dual_mul_f32 v235, 0xbf1a4643, v198
	v_fmamk_f32 v236, v195, 0xbf4c4adb, v235
	v_fmac_f32_e32 v235, 0x3f4c4adb, v195
	s_delay_alu instid0(VALU_DEP_2) | instskip(SKIP_1) | instid1(VALU_DEP_2)
	v_dual_add_f32 v223, v236, v223 :: v_dual_mul_f32 v236, 0x3f2c7751, v182
	v_add_f32_e32 v221, v245, v221
	v_fmamk_f32 v245, v180, 0x3f3d2fb0, v236
	v_fma_f32 v226, 0x3f3d2fb0, v180, -v236
	s_delay_alu instid0(VALU_DEP_2) | instskip(SKIP_1) | instid1(VALU_DEP_1)
	v_add_f32_e32 v222, v245, v222
	v_mul_f32_e32 v245, 0x3f3d2fb0, v190
	v_fmamk_f32 v247, v181, 0xbf2c7751, v245
	v_fmac_f32_e32 v245, 0x3f2c7751, v181
	s_delay_alu instid0(VALU_DEP_2) | instskip(SKIP_3) | instid1(VALU_DEP_2)
	v_add_f32_e32 v223, v247, v223
	v_add_f32_e32 v247, v226, v224
	v_mul_f32_e32 v226, 0xbf59a7d5, v188
	v_mul_f32_e32 v224, 0x3f06c442, v194
	v_fmamk_f32 v227, v187, 0xbf06c442, v226
	v_dual_fmac_f32 v226, 0x3f06c442, v187 :: v_dual_add_f32 v225, v229, v225
	s_delay_alu instid0(VALU_DEP_2) | instskip(SKIP_1) | instid1(VALU_DEP_3)
	v_add_f32_e32 v217, v227, v217
	v_mul_f32_e32 v227, 0x3f2c7751, v189
	v_add_f32_e32 v225, v231, v225
	s_delay_alu instid0(VALU_DEP_2) | instskip(NEXT) | instid1(VALU_DEP_2)
	v_dual_add_f32 v215, v226, v215 :: v_dual_fmamk_f32 v228, v175, 0x3f3d2fb0, v227
	v_add_f32_e32 v225, v233, v225
	s_delay_alu instid0(VALU_DEP_1) | instskip(NEXT) | instid1(VALU_DEP_1)
	v_add_f32_e32 v225, v235, v225
	v_add_f32_e32 v248, v245, v225
	v_fmamk_f32 v225, v185, 0xbf59a7d5, v224
	s_delay_alu instid0(VALU_DEP_1) | instskip(NEXT) | instid1(VALU_DEP_1)
	v_add_f32_e32 v225, v225, v239
	v_dual_add_f32 v225, v228, v225 :: v_dual_mul_f32 v228, 0x3f3d2fb0, v178
	s_delay_alu instid0(VALU_DEP_1) | instskip(NEXT) | instid1(VALU_DEP_1)
	v_fmamk_f32 v229, v176, 0xbf2c7751, v228
	v_dual_fmac_f32 v228, 0x3f2c7751, v176 :: v_dual_add_f32 v217, v229, v217
	v_mul_f32_e32 v229, 0xbf65296c, v208
	s_delay_alu instid0(VALU_DEP_1) | instskip(NEXT) | instid1(VALU_DEP_1)
	v_dual_add_f32 v215, v228, v215 :: v_dual_fmamk_f32 v230, v191, 0x3ee437d1, v229
	v_add_f32_e32 v225, v230, v225
	v_mul_f32_e32 v230, 0x3ee437d1, v197
	s_delay_alu instid0(VALU_DEP_1) | instskip(NEXT) | instid1(VALU_DEP_1)
	v_fmamk_f32 v231, v192, 0x3f65296c, v230
	v_dual_fmac_f32 v230, 0xbf65296c, v192 :: v_dual_add_f32 v217, v231, v217
	v_mul_f32_e32 v231, 0xbe3c28d5, v193
	s_delay_alu instid0(VALU_DEP_1) | instskip(NEXT) | instid1(VALU_DEP_1)
	v_dual_add_f32 v215, v230, v215 :: v_dual_fmamk_f32 v232, v183, 0xbf7ba420, v231
	v_dual_add_f32 v225, v232, v225 :: v_dual_mul_f32 v232, 0xbf7ba420, v186
	s_delay_alu instid0(VALU_DEP_1) | instskip(NEXT) | instid1(VALU_DEP_1)
	v_fmamk_f32 v233, v184, 0x3e3c28d5, v232
	v_dual_fmac_f32 v232, 0xbe3c28d5, v184 :: v_dual_add_f32 v217, v233, v217
	v_mul_f32_e32 v233, 0x3f7ee86f, v253
	s_delay_alu instid0(VALU_DEP_2) | instskip(NEXT) | instid1(VALU_DEP_2)
	v_add_f32_e32 v215, v232, v215
	v_fmamk_f32 v234, v160, 0x3dbcf732, v233
	s_delay_alu instid0(VALU_DEP_1) | instskip(NEXT) | instid1(VALU_DEP_1)
	v_dual_add_f32 v225, v234, v225 :: v_dual_mul_f32 v234, 0x3dbcf732, v207
	v_fmamk_f32 v235, v201, 0xbf7ee86f, v234
	v_fmac_f32_e32 v234, 0x3f7ee86f, v201
	s_delay_alu instid0(VALU_DEP_2) | instskip(SKIP_1) | instid1(VALU_DEP_1)
	v_add_f32_e32 v217, v235, v217
	v_mul_f32_e32 v235, 0xbeb8f4ab, v202
	v_dual_add_f32 v215, v234, v215 :: v_dual_fmamk_f32 v236, v196, 0x3f6eb680, v235
	s_delay_alu instid0(VALU_DEP_1) | instskip(NEXT) | instid1(VALU_DEP_1)
	v_dual_add_f32 v225, v236, v225 :: v_dual_mul_f32 v236, 0x3f6eb680, v198
	v_fmamk_f32 v237, v195, 0x3eb8f4ab, v236
	s_delay_alu instid0(VALU_DEP_1) | instskip(SKIP_1) | instid1(VALU_DEP_1)
	v_dual_fmac_f32 v236, 0xbeb8f4ab, v195 :: v_dual_add_f32 v217, v237, v217
	v_mul_f32_e32 v237, 0xbf4c4adb, v182
	v_fmamk_f32 v238, v180, 0xbf1a4643, v237
	s_delay_alu instid0(VALU_DEP_1) | instskip(SKIP_1) | instid1(VALU_DEP_1)
	v_add_f32_e32 v249, v238, v225
	v_mul_f32_e32 v225, 0xbf1a4643, v190
	v_fmamk_f32 v238, v181, 0x3f4c4adb, v225
	v_fmac_f32_e32 v225, 0xbf4c4adb, v181
	s_delay_alu instid0(VALU_DEP_2) | instskip(SKIP_1) | instid1(VALU_DEP_1)
	v_add_f32_e32 v250, v238, v217
	v_fma_f32 v217, 0xbf59a7d5, v185, -v224
	v_add_f32_e32 v216, v217, v216
	v_fma_f32 v217, 0x3f3d2fb0, v175, -v227
	s_delay_alu instid0(VALU_DEP_1) | instskip(SKIP_1) | instid1(VALU_DEP_1)
	v_add_f32_e32 v216, v217, v216
	v_fma_f32 v217, 0x3ee437d1, v191, -v229
	v_add_f32_e32 v216, v217, v216
	v_fma_f32 v217, 0xbf7ba420, v183, -v231
	s_delay_alu instid0(VALU_DEP_1) | instskip(SKIP_1) | instid1(VALU_DEP_1)
	v_add_f32_e32 v216, v217, v216
	v_fma_f32 v217, 0x3dbcf732, v160, -v233
	v_add_f32_e32 v216, v217, v216
	v_fma_f32 v217, 0x3f6eb680, v196, -v235
	s_delay_alu instid0(VALU_DEP_1) | instskip(SKIP_3) | instid1(VALU_DEP_3)
	v_dual_add_f32 v216, v217, v216 :: v_dual_add_f32 v217, v236, v215
	v_fma_f32 v215, 0xbf1a4643, v180, -v237
	v_mul_f32_e32 v236, 0x3f65296c, v182
	v_mul_f32_e32 v237, 0x3ee437d1, v190
	v_dual_add_f32 v215, v215, v216 :: v_dual_add_f32 v216, v225, v217
	v_mul_f32_e32 v217, 0x3f763a35, v194
	s_delay_alu instid0(VALU_DEP_1) | instskip(SKIP_1) | instid1(VALU_DEP_2)
	v_fmamk_f32 v224, v185, 0xbe8c1d8e, v217
	v_fma_f32 v217, 0xbe8c1d8e, v185, -v217
	v_add_f32_e32 v214, v224, v214
	v_mul_f32_e32 v224, 0xbe8c1d8e, v188
	s_delay_alu instid0(VALU_DEP_1) | instskip(NEXT) | instid1(VALU_DEP_1)
	v_dual_add_f32 v212, v217, v212 :: v_dual_fmamk_f32 v225, v187, 0xbf763a35, v224
	v_dual_fmac_f32 v224, 0x3f763a35, v187 :: v_dual_add_f32 v213, v225, v213
	v_mul_f32_e32 v225, 0xbeb8f4ab, v189
	s_delay_alu instid0(VALU_DEP_1) | instskip(SKIP_1) | instid1(VALU_DEP_2)
	v_dual_add_f32 v211, v224, v211 :: v_dual_fmamk_f32 v226, v175, 0x3f6eb680, v225
	v_fma_f32 v217, 0x3f6eb680, v175, -v225
	v_add_f32_e32 v214, v226, v214
	v_mul_f32_e32 v226, 0x3f6eb680, v178
	s_delay_alu instid0(VALU_DEP_1) | instskip(NEXT) | instid1(VALU_DEP_1)
	v_dual_add_f32 v212, v217, v212 :: v_dual_fmamk_f32 v227, v176, 0x3eb8f4ab, v226
	v_dual_fmac_f32 v226, 0xbeb8f4ab, v176 :: v_dual_add_f32 v213, v227, v213
	v_mul_f32_e32 v227, 0xbf06c442, v208
	s_delay_alu instid0(VALU_DEP_1) | instskip(SKIP_1) | instid1(VALU_DEP_2)
	v_dual_add_f32 v211, v226, v211 :: v_dual_fmamk_f32 v228, v191, 0xbf59a7d5, v227
	;; [unrolled: 9-line block ×4, first 2 shown]
	v_fma_f32 v217, 0x3f3d2fb0, v160, -v231
	v_add_f32_e32 v214, v232, v214
	v_mul_f32_e32 v232, 0x3f3d2fb0, v207
	s_delay_alu instid0(VALU_DEP_3) | instskip(NEXT) | instid1(VALU_DEP_2)
	v_add_f32_e32 v212, v217, v212
	v_fmamk_f32 v233, v201, 0x3f2c7751, v232
	v_fmac_f32_e32 v232, 0xbf2c7751, v201
	s_delay_alu instid0(VALU_DEP_2) | instskip(SKIP_1) | instid1(VALU_DEP_3)
	v_add_f32_e32 v213, v233, v213
	v_mul_f32_e32 v233, 0xbe3c28d5, v202
	v_add_f32_e32 v211, v232, v211
	s_delay_alu instid0(VALU_DEP_2) | instskip(SKIP_1) | instid1(VALU_DEP_2)
	v_fmamk_f32 v234, v196, 0xbf7ba420, v233
	v_fma_f32 v217, 0xbf7ba420, v196, -v233
	v_add_f32_e32 v214, v234, v214
	v_mul_f32_e32 v234, 0xbf7ba420, v198
	s_delay_alu instid0(VALU_DEP_1) | instskip(NEXT) | instid1(VALU_DEP_1)
	v_dual_add_f32 v212, v217, v212 :: v_dual_fmamk_f32 v235, v195, 0x3e3c28d5, v234
	v_dual_fmac_f32 v234, 0xbe3c28d5, v195 :: v_dual_add_f32 v235, v235, v213
	v_fmamk_f32 v213, v180, 0x3ee437d1, v236
	s_delay_alu instid0(VALU_DEP_2)
	v_add_f32_e32 v217, v234, v211
	v_fma_f32 v211, 0x3ee437d1, v180, -v236
	v_mul_f32_e32 v236, 0xbf763a35, v182
	v_mul_f32_e32 v182, 0x3f7ee86f, v182
	v_add_f32_e32 v213, v213, v214
	v_fmamk_f32 v214, v181, 0xbf65296c, v237
	v_fmac_f32_e32 v237, 0x3f65296c, v181
	s_delay_alu instid0(VALU_DEP_1) | instskip(SKIP_2) | instid1(VALU_DEP_2)
	v_dual_add_f32 v211, v211, v212 :: v_dual_add_f32 v212, v237, v217
	v_mul_f32_e32 v217, 0x3f65296c, v194
	v_mul_f32_e32 v194, 0x3eb8f4ab, v194
	v_fmamk_f32 v224, v185, 0x3ee437d1, v217
	v_fma_f32 v217, 0x3ee437d1, v185, -v217
	s_delay_alu instid0(VALU_DEP_2) | instskip(SKIP_1) | instid1(VALU_DEP_3)
	v_add_f32_e32 v210, v224, v210
	v_mul_f32_e32 v224, 0x3ee437d1, v188
	v_dual_mul_f32 v188, 0x3f6eb680, v188 :: v_dual_add_f32 v179, v217, v179
	s_delay_alu instid0(VALU_DEP_2) | instskip(NEXT) | instid1(VALU_DEP_1)
	v_fmamk_f32 v225, v187, 0xbf65296c, v224
	v_dual_fmac_f32 v224, 0x3f65296c, v187 :: v_dual_add_f32 v209, v225, v209
	v_mul_f32_e32 v225, 0xbf7ee86f, v189
	v_mul_f32_e32 v189, 0xbf06c442, v189
	s_delay_alu instid0(VALU_DEP_2) | instskip(SKIP_1) | instid1(VALU_DEP_2)
	v_fmamk_f32 v226, v175, 0x3dbcf732, v225
	v_fma_f32 v217, 0x3dbcf732, v175, -v225
	v_add_f32_e32 v210, v226, v210
	v_mul_f32_e32 v226, 0x3dbcf732, v178
	s_delay_alu instid0(VALU_DEP_3) | instskip(NEXT) | instid1(VALU_DEP_2)
	v_dual_mul_f32 v178, 0xbf59a7d5, v178 :: v_dual_add_f32 v179, v217, v179
	v_fmamk_f32 v227, v176, 0x3f7ee86f, v226
	s_delay_alu instid0(VALU_DEP_1) | instskip(SKIP_2) | instid1(VALU_DEP_2)
	v_dual_fmac_f32 v226, 0xbf7ee86f, v176 :: v_dual_add_f32 v209, v227, v209
	v_mul_f32_e32 v227, 0x3f4c4adb, v208
	v_mul_f32_e32 v208, 0x3f2c7751, v208
	v_fmamk_f32 v228, v191, 0xbf1a4643, v227
	v_fma_f32 v217, 0xbf1a4643, v191, -v227
	s_delay_alu instid0(VALU_DEP_2) | instskip(NEXT) | instid1(VALU_DEP_2)
	v_add_f32_e32 v210, v228, v210
	v_dual_mul_f32 v228, 0xbf1a4643, v197 :: v_dual_add_f32 v179, v217, v179
	v_mul_f32_e32 v197, 0x3f3d2fb0, v197
	s_delay_alu instid0(VALU_DEP_2) | instskip(NEXT) | instid1(VALU_DEP_1)
	v_fmamk_f32 v229, v192, 0xbf4c4adb, v228
	v_dual_fmac_f32 v228, 0x3f4c4adb, v192 :: v_dual_add_f32 v209, v229, v209
	v_mul_f32_e32 v229, 0xbeb8f4ab, v193
	s_delay_alu instid0(VALU_DEP_1) | instskip(SKIP_1) | instid1(VALU_DEP_2)
	v_fmamk_f32 v230, v183, 0x3f6eb680, v229
	v_fma_f32 v217, 0x3f6eb680, v183, -v229
	v_add_f32_e32 v210, v230, v210
	s_delay_alu instid0(VALU_DEP_2) | instskip(NEXT) | instid1(VALU_DEP_1)
	v_dual_mul_f32 v230, 0x3f6eb680, v186 :: v_dual_add_f32 v179, v217, v179
	v_fmamk_f32 v231, v184, 0x3eb8f4ab, v230
	s_delay_alu instid0(VALU_DEP_1) | instskip(SKIP_1) | instid1(VALU_DEP_1)
	v_dual_fmac_f32 v230, 0xbeb8f4ab, v184 :: v_dual_add_f32 v209, v231, v209
	v_mul_f32_e32 v231, 0xbe3c28d5, v253
	v_fmamk_f32 v232, v160, 0xbf7ba420, v231
	v_fma_f32 v217, 0xbf7ba420, v160, -v231
	s_delay_alu instid0(VALU_DEP_2) | instskip(SKIP_1) | instid1(VALU_DEP_3)
	v_add_f32_e32 v210, v232, v210
	v_mul_f32_e32 v232, 0xbf7ba420, v207
	v_add_f32_e32 v179, v217, v179
	s_delay_alu instid0(VALU_DEP_2) | instskip(SKIP_1) | instid1(VALU_DEP_2)
	v_dual_add_f32 v214, v214, v235 :: v_dual_fmamk_f32 v233, v201, 0x3e3c28d5, v232
	v_fmac_f32_e32 v232, 0xbe3c28d5, v201
	v_add_f32_e32 v209, v233, v209
	v_mul_f32_e32 v233, 0x3f2c7751, v202
	s_delay_alu instid0(VALU_DEP_1) | instskip(NEXT) | instid1(VALU_DEP_1)
	v_fma_f32 v217, 0x3f3d2fb0, v196, -v233
	v_dual_fmamk_f32 v234, v196, 0x3f3d2fb0, v233 :: v_dual_add_f32 v179, v217, v179
	s_delay_alu instid0(VALU_DEP_1) | instskip(SKIP_2) | instid1(VALU_DEP_3)
	v_dual_fmamk_f32 v217, v185, 0x3f6eb680, v194 :: v_dual_add_f32 v210, v234, v210
	v_mul_f32_e32 v234, 0x3f3d2fb0, v198
	v_fma_f32 v185, 0x3f6eb680, v185, -v194
	v_dual_add_f32 v174, v217, v174 :: v_dual_fmamk_f32 v217, v187, 0xbeb8f4ab, v188
	s_delay_alu instid0(VALU_DEP_3) | instskip(SKIP_1) | instid1(VALU_DEP_4)
	v_fmamk_f32 v235, v195, 0xbf2c7751, v234
	v_fmac_f32_e32 v188, 0x3eb8f4ab, v187
	v_add_f32_e32 v171, v185, v171
	v_mul_f32_e32 v187, 0xbf4c4adb, v193
	v_add_f32_e32 v173, v217, v173
	v_fmamk_f32 v217, v175, 0xbf59a7d5, v189
	v_fma_f32 v175, 0xbf59a7d5, v175, -v189
	s_delay_alu instid0(VALU_DEP_4) | instskip(SKIP_1) | instid1(VALU_DEP_4)
	v_dual_add_f32 v172, v188, v172 :: v_dual_fmamk_f32 v193, v183, 0xbf1a4643, v187
	v_fmac_f32_e32 v234, 0x3f2c7751, v195
	v_dual_add_f32 v174, v217, v174 :: v_dual_fmamk_f32 v217, v176, 0x3f06c442, v178
	v_dual_fmac_f32 v178, 0xbf06c442, v176 :: v_dual_add_f32 v235, v235, v209
	v_dual_mul_f32 v176, 0xbf1a4643, v186 :: v_dual_add_f32 v171, v175, v171
	s_delay_alu instid0(VALU_DEP_3) | instskip(SKIP_2) | instid1(VALU_DEP_4)
	v_add_f32_e32 v173, v217, v173
	v_fmamk_f32 v217, v191, 0x3f3d2fb0, v208
	v_fma_f32 v175, 0x3f3d2fb0, v191, -v208
	v_dual_fmamk_f32 v185, v184, 0x3f4c4adb, v176 :: v_dual_add_f32 v172, v178, v172
	v_mul_f32_e32 v178, 0x3f65296c, v253
	s_delay_alu instid0(VALU_DEP_4) | instskip(SKIP_3) | instid1(VALU_DEP_4)
	v_dual_add_f32 v174, v217, v174 :: v_dual_fmamk_f32 v217, v192, 0xbf2c7751, v197
	v_fmac_f32_e32 v197, 0x3f2c7751, v192
	v_add_f32_e32 v171, v175, v171
	v_fma_f32 v175, 0xbf1a4643, v183, -v187
	v_add_f32_e32 v174, v193, v174
	v_add_f32_e32 v173, v217, v173
	;; [unrolled: 1-line block ×3, first 2 shown]
	s_delay_alu instid0(VALU_DEP_4) | instskip(SKIP_1) | instid1(VALU_DEP_4)
	v_dual_fmac_f32 v176, 0xbf4c4adb, v184 :: v_dual_add_f32 v171, v175, v171
	v_mul_f32_e32 v175, 0xbf763a35, v202
	v_add_f32_e32 v173, v185, v173
	v_fmamk_f32 v185, v160, 0x3ee437d1, v178
	v_mul_f32_e32 v237, 0xbe8c1d8e, v190
	v_dual_mul_f32 v183, 0x3ee437d1, v207 :: v_dual_add_f32 v172, v176, v172
	v_fmamk_f32 v176, v196, 0xbe8c1d8e, v175
	s_delay_alu instid0(VALU_DEP_4) | instskip(NEXT) | instid1(VALU_DEP_3)
	v_dual_add_f32 v174, v185, v174 :: v_dual_fmamk_f32 v209, v180, 0xbe8c1d8e, v236
	v_fmamk_f32 v184, v201, 0xbf65296c, v183
	v_fma_f32 v160, 0x3ee437d1, v160, -v178
	s_delay_alu instid0(VALU_DEP_3)
	v_dual_fmac_f32 v183, 0x3f65296c, v201 :: v_dual_add_f32 v174, v176, v174
	v_mul_f32_e32 v176, 0xbe8c1d8e, v198
	v_add_f32_e32 v209, v209, v210
	v_add_f32_e32 v177, v224, v177
	;; [unrolled: 1-line block ×4, first 2 shown]
	v_fma_f32 v175, 0xbe8c1d8e, v196, -v175
	v_fmamk_f32 v178, v195, 0x3f763a35, v176
	v_fmac_f32_e32 v176, 0xbf763a35, v195
	v_mul_f32_e32 v183, 0x3dbcf732, v190
	s_delay_alu instid0(VALU_DEP_4) | instskip(SKIP_1) | instid1(VALU_DEP_3)
	v_dual_add_f32 v173, v184, v173 :: v_dual_add_f32 v160, v175, v160
	v_fma_f32 v171, 0xbe8c1d8e, v180, -v236
	v_dual_add_f32 v176, v176, v172 :: v_dual_fmamk_f32 v175, v181, 0xbf7ee86f, v183
	v_fmac_f32_e32 v183, 0x3f7ee86f, v181
	v_dual_add_f32 v177, v226, v177 :: v_dual_fmamk_f32 v210, v181, 0x3f763a35, v237
	s_delay_alu instid0(VALU_DEP_4) | instskip(NEXT) | instid1(VALU_DEP_2)
	v_dual_add_f32 v171, v171, v179 :: v_dual_add_f32 v178, v178, v173
	v_dual_add_f32 v176, v183, v176 :: v_dual_add_f32 v177, v228, v177
	v_fmamk_f32 v173, v180, 0x3dbcf732, v182
	v_fma_f32 v179, 0x3dbcf732, v180, -v182
	v_dual_fmac_f32 v237, 0xbf763a35, v181 :: v_dual_add_f32 v210, v210, v235
	s_delay_alu instid0(VALU_DEP_4) | instskip(NEXT) | instid1(VALU_DEP_4)
	v_add_f32_e32 v177, v230, v177
	v_add_f32_e32 v173, v173, v174
	v_add_f32_e32 v174, v175, v178
	v_add_f32_e32 v175, v179, v160
	s_delay_alu instid0(VALU_DEP_4) | instskip(NEXT) | instid1(VALU_DEP_1)
	v_add_f32_e32 v177, v232, v177
	v_add_f32_e32 v177, v234, v177
	s_delay_alu instid0(VALU_DEP_1)
	v_add_f32_e32 v172, v237, v177
	ds_store_2addr_b64 v251, v[128:129], v[152:153] offset1:1
	ds_store_2addr_b64 v251, v[167:168], v[218:219] offset0:2 offset1:3
	ds_store_2addr_b64 v251, v[222:223], v[249:250] offset0:4 offset1:5
	;; [unrolled: 1-line block ×7, first 2 shown]
	ds_store_b64 v251, v[140:141] offset:128
	s_and_saveexec_b32 s0, vcc_lo
	s_cbranch_execz .LBB0_13
; %bb.12:
	v_dual_add_f32 v128, v139, v131 :: v_dual_add_f32 v129, v138, v130
	v_dual_sub_f32 v152, v158, v161 :: v_dual_add_f32 v153, v161, v158
	v_dual_sub_f32 v140, v150, v165 :: v_dual_add_f32 v141, v165, v150
	s_delay_alu instid0(VALU_DEP_3) | instskip(SKIP_1) | instid1(VALU_DEP_2)
	v_dual_add_f32 v128, v145, v128 :: v_dual_add_f32 v129, v144, v129
	v_dual_add_f32 v168, v166, v151 :: v_dual_sub_f32 v167, v155, v164
	v_dual_add_f32 v169, v164, v155 :: v_dual_add_f32 v128, v147, v128
	s_delay_alu instid0(VALU_DEP_3) | instskip(NEXT) | instid1(VALU_DEP_3)
	v_dual_add_f32 v129, v146, v129 :: v_dual_mov_b32 v8, v124
	v_mul_f32_e32 v211, 0x3f2c7751, v167
	s_delay_alu instid0(VALU_DEP_3) | instskip(NEXT) | instid1(VALU_DEP_3)
	v_dual_mul_f32 v225, 0xbeb8f4ab, v167 :: v_dual_add_f32 v128, v157, v128
	v_add_f32_e32 v129, v156, v129
	v_mul_f32_e32 v255, 0xbf7ee86f, v167
	v_dual_mov_b32 v11, v127 :: v_dual_mov_b32 v10, v126
	s_delay_alu instid0(VALU_DEP_3) | instskip(SKIP_2) | instid1(VALU_DEP_3)
	v_dual_add_f32 v128, v159, v128 :: v_dual_add_f32 v129, v158, v129
	v_add_f32_e32 v158, v143, v157
	v_mov_b32_e32 v71, v39
	v_dual_mov_b32 v69, v37 :: v_dual_add_f32 v128, v151, v128
	s_delay_alu instid0(VALU_DEP_4) | instskip(SKIP_1) | instid1(VALU_DEP_2)
	v_dual_add_f32 v129, v150, v129 :: v_dual_sub_f32 v160, v151, v166
	v_dual_sub_f32 v150, v154, v163 :: v_dual_add_f32 v151, v163, v154
	v_dual_add_f32 v128, v155, v128 :: v_dual_add_f32 v129, v154, v129
	v_dual_sub_f32 v154, v156, v142 :: v_dual_add_f32 v155, v142, v156
	v_add_f32_e32 v156, v149, v147
	s_delay_alu instid0(VALU_DEP_3) | instskip(SKIP_2) | instid1(VALU_DEP_4)
	v_dual_add_f32 v128, v135, v128 :: v_dual_add_f32 v129, v134, v129
	v_sub_f32_e32 v147, v147, v149
	v_mul_f32_e32 v237, 0xbf06c442, v160
	v_mul_f32_e32 v229, 0xbe8c1d8e, v156
	s_delay_alu instid0(VALU_DEP_4) | instskip(SKIP_3) | instid1(VALU_DEP_4)
	v_dual_add_f32 v128, v137, v128 :: v_dual_add_f32 v129, v136, v129
	v_mul_f32_e32 v254, 0xbeb8f4ab, v160
	v_mov_b32_e32 v68, v36
	v_mov_b32_e32 v70, v38
	v_dual_add_f32 v128, v164, v128 :: v_dual_add_f32 v129, v163, v129
	v_add_f32_e32 v163, v162, v159
	v_dual_sub_f32 v159, v159, v162 :: v_dual_mul_f32 v214, 0xbf4c4adb, v152
	s_delay_alu instid0(VALU_DEP_3) | instskip(NEXT) | instid1(VALU_DEP_3)
	v_dual_add_f32 v128, v166, v128 :: v_dual_add_f32 v129, v165, v129
	v_mul_f32_e32 v248, 0x3f3d2fb0, v163
	s_delay_alu instid0(VALU_DEP_3) | instskip(SKIP_1) | instid1(VALU_DEP_4)
	v_mul_f32_e32 v236, 0xbf65296c, v159
	v_mov_b32_e32 v36, v246
	v_dual_add_f32 v128, v162, v128 :: v_dual_add_f32 v129, v161, v129
	v_sub_f32_e32 v157, v157, v143
	v_mul_f32_e32 v253, 0x3f2c7751, v159
	s_delay_alu instid0(VALU_DEP_3) | instskip(NEXT) | instid1(VALU_DEP_4)
	v_dual_mul_f32 v209, 0xbeb8f4ab, v159 :: v_dual_add_f32 v128, v143, v128
	v_add_f32_e32 v129, v142, v129
	v_dual_sub_f32 v142, v146, v148 :: v_dual_add_f32 v143, v148, v146
	v_sub_f32_e32 v146, v144, v132
	s_delay_alu instid0(VALU_DEP_3) | instskip(SKIP_2) | instid1(VALU_DEP_3)
	v_dual_add_f32 v128, v149, v128 :: v_dual_add_f32 v129, v148, v129
	v_add_f32_e32 v148, v133, v145
	v_dual_sub_f32 v145, v145, v133 :: v_dual_add_f32 v144, v132, v144
	v_add_f32_e32 v128, v133, v128
	s_delay_alu instid0(VALU_DEP_4) | instskip(SKIP_3) | instid1(VALU_DEP_4)
	v_dual_add_f32 v132, v132, v129 :: v_dual_add_f32 v133, v243, v139
	v_sub_f32_e32 v129, v138, v242
	v_dual_sub_f32 v139, v139, v243 :: v_dual_add_f32 v138, v242, v138
	v_mul_f32_e32 v208, 0x3f4c4adb, v157
	v_mul_f32_e32 v166, 0xbe8c1d8e, v133
	s_delay_alu instid0(VALU_DEP_3)
	v_dual_mul_f32 v161, 0xbf06c442, v129 :: v_dual_mul_f32 v180, 0xbf06c442, v139
	v_mul_f32_e32 v183, 0xbf763a35, v139
	v_mul_f32_e32 v186, 0xbf2c7751, v139
	;; [unrolled: 1-line block ×3, first 2 shown]
	v_fmamk_f32 v174, v129, 0x3f763a35, v166
	v_fmac_f32_e32 v166, 0xbf763a35, v129
	v_fmamk_f32 v188, v138, 0xbe8c1d8e, v183
	v_fmamk_f32 v191, v138, 0x3f3d2fb0, v186
	;; [unrolled: 1-line block ×4, first 2 shown]
	v_mul_f32_e32 v149, 0xbe3c28d5, v129
	v_fma_f32 v181, 0xbf59a7d5, v138, -v180
	v_add_f32_e32 v188, v130, v188
	v_dual_fmac_f32 v180, 0xbf59a7d5, v138 :: v_dual_add_f32 v197, v131, v177
	v_dual_mul_f32 v165, 0xbf1a4643, v133 :: v_dual_add_f32 v164, v131, v164
	s_delay_alu instid0(VALU_DEP_4) | instskip(SKIP_1) | instid1(VALU_DEP_3)
	v_dual_fmamk_f32 v162, v133, 0xbf7ba420, v149 :: v_dual_add_f32 v181, v130, v181
	v_fma_f32 v149, 0xbf7ba420, v133, -v149
	v_dual_add_f32 v180, v130, v180 :: v_dual_fmamk_f32 v173, v129, 0x3f4c4adb, v165
	v_dual_fmac_f32 v165, 0xbf4c4adb, v129 :: v_dual_mul_f32 v182, 0xbf4c4adb, v139
	v_fma_f32 v161, 0xbf59a7d5, v133, -v161
	v_mul_f32_e32 v184, 0xbf7ee86f, v139
	v_mul_f32_e32 v185, 0xbf65296c, v139
	v_mul_f32_e32 v171, 0x3ee437d1, v133
	v_add_f32_e32 v201, v131, v165
	s_delay_alu instid0(VALU_DEP_4) | instskip(SKIP_3) | instid1(VALU_DEP_4)
	v_dual_mul_f32 v170, 0x3dbcf732, v133 :: v_dual_fmamk_f32 v189, v138, 0x3dbcf732, v184
	v_mul_f32_e32 v133, 0x3f6eb680, v133
	v_fmamk_f32 v187, v138, 0xbf1a4643, v182
	v_fma_f32 v184, 0x3dbcf732, v138, -v184
	v_dual_fmamk_f32 v175, v129, 0x3f7ee86f, v170 :: v_dual_add_f32 v196, v131, v161
	s_delay_alu instid0(VALU_DEP_4) | instskip(NEXT) | instid1(VALU_DEP_4)
	v_dual_fmamk_f32 v178, v129, 0x3eb8f4ab, v133 :: v_dual_add_f32 v189, v130, v189
	v_dual_fmac_f32 v170, 0xbf7ee86f, v129 :: v_dual_add_f32 v187, v130, v187
	s_delay_alu instid0(VALU_DEP_3)
	v_dual_fmac_f32 v172, 0xbf2c7751, v129 :: v_dual_add_f32 v175, v131, v175
	v_add_f32_e32 v194, v131, v149
	v_add_f32_e32 v173, v131, v173
	;; [unrolled: 1-line block ×3, first 2 shown]
	v_fmamk_f32 v190, v138, 0x3ee437d1, v185
	v_fmamk_f32 v176, v129, 0x3f65296c, v171
	v_fmac_f32_e32 v171, 0xbf65296c, v129
	v_fmac_f32_e32 v133, 0xbeb8f4ab, v129
	s_delay_alu instid0(VALU_DEP_4) | instskip(SKIP_3) | instid1(VALU_DEP_4)
	v_dual_mul_f32 v129, 0xbe3c28d5, v139 :: v_dual_add_f32 v190, v130, v190
	v_mul_f32_e32 v139, 0xbeb8f4ab, v139
	v_fma_f32 v182, 0xbf1a4643, v138, -v182
	v_fma_f32 v183, 0xbe8c1d8e, v138, -v183
	;; [unrolled: 1-line block ×5, first 2 shown]
	v_fmamk_f32 v192, v138, 0x3f6eb680, v139
	v_fmac_f32_e32 v129, 0xbf7ba420, v138
	v_fma_f32 v138, 0x3f6eb680, v138, -v139
	v_add_f32_e32 v176, v131, v176
	v_dual_add_f32 v37, v130, v184 :: v_dual_add_f32 v0, v131, v133
	v_mul_f32_e32 v165, 0x3f65296c, v146
	v_add_f32_e32 v179, v130, v179
	v_dual_add_f32 v191, v130, v191 :: v_dual_add_f32 v166, v131, v166
	scratch_store_b32 off, v0, off offset:296 ; 4-byte Folded Spill
	v_add_f32_e32 v0, v130, v138
	v_sub_f32_e32 v138, v134, v136
	v_add_f32_e32 v192, v130, v192
	v_dual_add_f32 v195, v130, v129 :: v_dual_add_f32 v174, v131, v174
	v_dual_add_f32 v38, v130, v182 :: v_dual_add_f32 v207, v131, v171
	;; [unrolled: 1-line block ×3, first 2 shown]
	v_add_f32_e32 v149, v130, v185
	v_dual_add_f32 v161, v130, v186 :: v_dual_add_f32 v186, v137, v135
	v_fmamk_f32 v130, v148, 0x3ee437d1, v165
	v_mul_f32_e32 v171, 0xbeb8f4ab, v152
	v_add_f32_e32 v193, v131, v162
	v_add_f32_e32 v162, v131, v172
	v_dual_add_f32 v136, v136, v134 :: v_dual_add_f32 v129, v243, v128
	v_add_f32_e32 v130, v130, v164
	v_mul_f32_e32 v164, 0xbf7ee86f, v142
	v_add_f32_e32 v128, v242, v132
	v_mul_f32_e32 v170, 0x3f4c4adb, v154
	v_mul_f32_e32 v172, 0xbe3c28d5, v140
	;; [unrolled: 1-line block ×3, first 2 shown]
	v_fmamk_f32 v131, v156, 0x3dbcf732, v164
	v_mul_f32_e32 v178, 0xbf7ee86f, v147
	v_dual_mul_f32 v210, 0xbe3c28d5, v160 :: v_dual_sub_f32 v137, v135, v137
	v_mul_f32_e32 v212, 0xbf763a35, v138
	s_delay_alu instid0(VALU_DEP_4) | instskip(NEXT) | instid1(VALU_DEP_4)
	v_dual_add_f32 v130, v131, v130 :: v_dual_fmamk_f32 v131, v158, 0xbf1a4643, v170
	v_fma_f32 v132, 0x3dbcf732, v143, -v178
	s_delay_alu instid0(VALU_DEP_4) | instskip(SKIP_1) | instid1(VALU_DEP_4)
	v_mul_f32_e32 v213, 0xbf763a35, v137
	v_dual_mul_f32 v134, 0x3eb8f4ab, v146 :: v_dual_mul_f32 v215, 0x3eb8f4ab, v145
	v_add_f32_e32 v130, v131, v130
	v_fmamk_f32 v131, v163, 0x3f6eb680, v171
	v_dual_mul_f32 v223, 0x3f7ee86f, v138 :: v_dual_mul_f32 v224, 0x3f7ee86f, v137
	v_fma_f32 v165, 0x3ee437d1, v148, -v165
	v_mul_f32_e32 v250, 0x3e3c28d5, v147
	s_delay_alu instid0(VALU_DEP_4)
	v_dual_add_f32 v130, v131, v130 :: v_dual_fmamk_f32 v131, v168, 0xbf7ba420, v172
	v_mul_f32_e32 v245, 0xbf7ba420, v156
	v_mul_f32_e32 v232, 0xbe3c28d5, v145
	;; [unrolled: 1-line block ×4, first 2 shown]
	v_add_f32_e32 v130, v131, v130
	v_fma_f32 v131, 0x3ee437d1, v144, -v177
	v_mul_f32_e32 v227, 0xbf4c4adb, v137
	v_mul_f32_e32 v228, 0xbf7ba420, v148
	v_mul_f32_e32 v233, 0x3f763a35, v147
	v_mul_f32_e32 v249, 0xbf4c4adb, v145
	v_add_f32_e32 v131, v131, v181
	v_mul_f32_e32 v181, 0x3f2c7751, v150
	v_mul_f32_e32 v234, 0xbf1a4643, v169
	;; [unrolled: 1-line block ×3, first 2 shown]
	s_delay_alu instid0(VALU_DEP_4) | instskip(NEXT) | instid1(VALU_DEP_4)
	v_dual_mul_f32 v242, 0x3f2c7751, v137 :: v_dual_add_f32 v131, v132, v131
	v_fmamk_f32 v132, v169, 0x3f3d2fb0, v181
	v_fma_f32 v164, 0x3dbcf732, v156, -v164
	v_mul_f32_e32 v239, 0x3f3d2fb0, v186
	v_mul_f32_e32 v246, 0x3dbcf732, v148
	;; [unrolled: 1-line block ×3, first 2 shown]
	v_add_f32_e32 v130, v132, v130
	v_fma_f32 v132, 0xbf1a4643, v155, -v208
	v_dual_mul_f32 v4, 0x3eb8f4ab, v137 :: v_dual_mov_b32 v185, v15
	s_delay_alu instid0(VALU_DEP_4) | instskip(NEXT) | instid1(VALU_DEP_3)
	v_dual_fmamk_f32 v3, v141, 0xbe8c1d8e, v2 :: v_dual_mov_b32 v184, v14
	v_add_f32_e32 v131, v132, v131
	v_fma_f32 v132, 0x3f6eb680, v153, -v209
	scratch_store_b32 off, v0, off offset:300 ; 4-byte Folded Spill
	v_dual_mul_f32 v0, 0x3f06c442, v159 :: v_dual_mov_b32 v43, v19
	v_dual_fmamk_f32 v5, v136, 0x3f6eb680, v4 :: v_dual_mov_b32 v42, v18
	v_add_f32_e32 v131, v132, v131
	v_fma_f32 v132, 0xbf7ba420, v141, -v210
	s_delay_alu instid0(VALU_DEP_4) | instskip(SKIP_2) | instid1(VALU_DEP_4)
	v_fmamk_f32 v1, v153, 0xbf59a7d5, v0
	v_fma_f32 v4, 0x3f6eb680, v136, -v4
	v_dual_add_f32 v165, v165, v196 :: v_dual_mul_f32 v196, 0xbeb8f4ab, v147
	v_add_f32_e32 v131, v132, v131
	v_fma_f32 v132, 0x3f3d2fb0, v151, -v211
	v_fmac_f32_e32 v208, 0xbf1a4643, v155
	s_delay_alu instid0(VALU_DEP_4)
	v_add_f32_e32 v164, v164, v165
	v_fma_f32 v165, 0xbf1a4643, v158, -v170
	v_fma_f32 v170, 0xbf7ba420, v168, -v172
	v_dual_add_f32 v132, v132, v131 :: v_dual_fmamk_f32 v131, v186, 0xbe8c1d8e, v212
	v_fmac_f32_e32 v177, 0x3ee437d1, v144
	v_fmac_f32_e32 v209, 0x3f6eb680, v153
	v_mul_f32_e32 v235, 0x3eb8f4ab, v157
	v_mul_f32_e32 v230, 0x3f6eb680, v158
	v_add_f32_e32 v131, v131, v130
	v_fma_f32 v130, 0xbe8c1d8e, v136, -v213
	v_fmac_f32_e32 v178, 0x3dbcf732, v143
	v_add_f32_e32 v164, v165, v164
	v_fma_f32 v165, 0x3f6eb680, v163, -v171
	v_fmac_f32_e32 v213, 0xbe8c1d8e, v136
	v_add_f32_e32 v130, v130, v132
	v_fmamk_f32 v132, v148, 0x3f6eb680, v134
	v_fma_f32 v134, 0x3f6eb680, v148, -v134
	v_dual_add_f32 v164, v165, v164 :: v_dual_fmac_f32 v211, 0x3f3d2fb0, v151
	s_delay_alu instid0(VALU_DEP_3) | instskip(SKIP_1) | instid1(VALU_DEP_4)
	v_dual_mul_f32 v231, 0x3ee437d1, v163 :: v_dual_add_f32 v132, v132, v193
	v_mul_f32_e32 v135, 0xbf06c442, v142
	v_add_f32_e32 v134, v134, v194
	v_mul_f32_e32 v194, 0x3dbcf732, v163
	v_mul_f32_e32 v243, 0xbf1a4643, v148
	v_mov_b32_e32 v9, v125
	v_fmamk_f32 v133, v156, 0xbf59a7d5, v135
	v_mov_b32_e32 v127, v123
	v_dual_mov_b32 v125, v121 :: v_dual_mov_b32 v124, v120
	v_mov_b32_e32 v126, v122
	s_delay_alu instid0(VALU_DEP_4) | instskip(SKIP_3) | instid1(VALU_DEP_4)
	v_dual_add_f32 v132, v133, v132 :: v_dual_mul_f32 v193, 0x3f2c7751, v154
	v_fma_f32 v135, 0xbf59a7d5, v156, -v135
	v_mov_b32_e32 v123, v119
	v_dual_mov_b32 v121, v117 :: v_dual_mov_b32 v122, v118
	v_dual_fmamk_f32 v133, v158, 0x3f3d2fb0, v193 :: v_dual_mov_b32 v120, v116
	v_dual_mov_b32 v119, v115 :: v_dual_mov_b32 v116, v112
	v_mov_b32_e32 v118, v114
	s_delay_alu instid0(VALU_DEP_3) | instskip(SKIP_3) | instid1(VALU_DEP_4)
	v_dual_add_f32 v132, v133, v132 :: v_dual_fmamk_f32 v133, v163, 0xbf1a4643, v214
	v_fma_f32 v193, 0x3f3d2fb0, v158, -v193
	v_mul_f32_e32 v251, 0x3dbcf732, v169
	v_mov_b32_e32 v117, v113
	v_dual_mov_b32 v115, v111 :: v_dual_add_f32 v132, v133, v132
	v_fma_f32 v133, 0x3f6eb680, v144, -v215
	v_dual_fmac_f32 v215, 0x3f6eb680, v144 :: v_dual_add_f32 v134, v135, v134
	v_mov_b32_e32 v114, v110
	s_delay_alu instid0(VALU_DEP_3) | instskip(SKIP_1) | instid1(VALU_DEP_4)
	v_dual_mov_b32 v112, v108 :: v_dual_add_f32 v133, v133, v179
	v_mul_f32_e32 v179, 0x3f65296c, v140
	v_dual_add_f32 v135, v215, v195 :: v_dual_add_f32 v134, v193, v134
	v_dual_add_f32 v165, v177, v180 :: v_dual_fmac_f32 v210, 0xbf7ba420, v141
	s_delay_alu instid0(VALU_DEP_3) | instskip(SKIP_1) | instid1(VALU_DEP_3)
	v_fmamk_f32 v216, v168, 0x3ee437d1, v179
	v_mul_f32_e32 v195, 0x3f763a35, v145
	v_dual_mul_f32 v180, 0xbe8c1d8e, v148 :: v_dual_add_f32 v165, v178, v165
	v_mul_f32_e32 v215, 0xbf59a7d5, v148
	s_delay_alu instid0(VALU_DEP_4) | instskip(SKIP_1) | instid1(VALU_DEP_4)
	v_add_f32_e32 v132, v216, v132
	v_dual_mul_f32 v216, 0xbf06c442, v147 :: v_dual_mov_b32 v113, v109
	v_dual_add_f32 v165, v208, v165 :: v_dual_add_f32 v164, v170, v164
	v_fma_f32 v170, 0x3f3d2fb0, v169, -v181
	s_delay_alu instid0(VALU_DEP_3) | instskip(SKIP_1) | instid1(VALU_DEP_4)
	v_fma_f32 v217, 0xbf59a7d5, v143, -v216
	v_mul_f32_e32 v181, 0x3f6eb680, v156
	v_add_f32_e32 v165, v209, v165
	v_mul_f32_e32 v208, 0xbf7ba420, v169
	s_delay_alu instid0(VALU_DEP_4) | instskip(SKIP_1) | instid1(VALU_DEP_4)
	v_dual_add_f32 v164, v170, v164 :: v_dual_add_f32 v133, v217, v133
	v_mul_f32_e32 v217, 0xbf763a35, v150
	v_add_f32_e32 v165, v210, v165
	v_fmamk_f32 v171, v142, 0x3eb8f4ab, v181
	v_mul_f32_e32 v209, 0xbf06c442, v157
	v_mul_f32_e32 v210, 0x3f7ee86f, v159
	v_fmamk_f32 v218, v169, 0xbe8c1d8e, v217
	v_add_f32_e32 v170, v211, v165
	v_fma_f32 v165, 0xbe8c1d8e, v186, -v212
	v_mul_f32_e32 v211, 0xbf2c7751, v160
	v_mul_f32_e32 v212, 0xbe3c28d5, v167
	v_add_f32_e32 v132, v218, v132
	s_delay_alu instid0(VALU_DEP_4) | instskip(SKIP_3) | instid1(VALU_DEP_4)
	v_dual_mul_f32 v218, 0x3f2c7751, v157 :: v_dual_add_f32 v165, v165, v164
	v_add_f32_e32 v164, v213, v170
	v_dual_fmamk_f32 v170, v146, 0xbf763a35, v180 :: v_dual_mov_b32 v111, v107
	v_mov_b32_e32 v110, v106
	v_fma_f32 v219, 0x3f3d2fb0, v155, -v218
	v_mov_b32_e32 v108, v104
	s_delay_alu instid0(VALU_DEP_4) | instskip(SKIP_1) | instid1(VALU_DEP_4)
	v_dual_add_f32 v170, v170, v173 :: v_dual_mov_b32 v109, v105
	v_mov_b32_e32 v107, v103
	v_add_f32_e32 v133, v219, v133
	v_mul_f32_e32 v219, 0xbf4c4adb, v159
	v_fma_f32 v193, 0xbf1a4643, v163, -v214
	v_dual_mov_b32 v106, v102 :: v_dual_mov_b32 v105, v101
	v_mov_b32_e32 v104, v100
	s_delay_alu instid0(VALU_DEP_4) | instskip(NEXT) | instid1(VALU_DEP_4)
	v_fma_f32 v220, 0xbf1a4643, v153, -v219
	v_dual_add_f32 v134, v193, v134 :: v_dual_fmac_f32 v219, 0xbf1a4643, v153
	v_mul_f32_e32 v193, 0xbf59a7d5, v158
	s_delay_alu instid0(VALU_DEP_3) | instskip(SKIP_2) | instid1(VALU_DEP_4)
	v_dual_add_f32 v170, v171, v170 :: v_dual_add_f32 v133, v220, v133
	v_fmac_f32_e32 v216, 0xbf59a7d5, v143
	v_mul_f32_e32 v220, 0x3f65296c, v160
	v_fmamk_f32 v171, v154, 0x3f06c442, v193
	v_dual_mov_b32 v103, v99 :: v_dual_mov_b32 v102, v98
	s_delay_alu instid0(VALU_DEP_4) | instskip(NEXT) | instid1(VALU_DEP_4)
	v_add_f32_e32 v135, v216, v135
	v_fma_f32 v221, 0x3ee437d1, v141, -v220
	v_fmac_f32_e32 v220, 0x3ee437d1, v141
	v_dual_add_f32 v170, v171, v170 :: v_dual_fmamk_f32 v171, v152, 0xbf7ee86f, v194
	s_delay_alu instid0(VALU_DEP_3) | instskip(SKIP_1) | instid1(VALU_DEP_3)
	v_dual_mul_f32 v216, 0x3f3d2fb0, v156 :: v_dual_add_f32 v133, v221, v133
	v_dual_mul_f32 v221, 0xbf763a35, v167 :: v_dual_mov_b32 v100, v96
	v_dual_add_f32 v170, v171, v170 :: v_dual_fmamk_f32 v171, v144, 0xbe8c1d8e, v195
	s_delay_alu instid0(VALU_DEP_3) | instskip(NEXT) | instid1(VALU_DEP_3)
	v_fmamk_f32 v173, v142, 0xbf2c7751, v216
	v_fma_f32 v222, 0xbe8c1d8e, v151, -v221
	v_fmac_f32_e32 v221, 0xbe8c1d8e, v151
	v_mov_b32_e32 v101, v97
	v_add_f32_e32 v171, v171, v187
	s_delay_alu instid0(VALU_DEP_4) | instskip(SKIP_2) | instid1(VALU_DEP_3)
	v_dual_mul_f32 v187, 0x3f3d2fb0, v168 :: v_dual_add_f32 v222, v222, v133
	v_fmamk_f32 v133, v186, 0x3dbcf732, v223
	v_fma_f32 v179, 0x3ee437d1, v168, -v179
	v_dual_mov_b32 v99, v95 :: v_dual_fmamk_f32 v172, v140, 0x3f2c7751, v187
	s_delay_alu instid0(VALU_DEP_3) | instskip(SKIP_1) | instid1(VALU_DEP_4)
	v_dual_mov_b32 v98, v94 :: v_dual_add_f32 v133, v133, v132
	v_fmac_f32_e32 v218, 0x3f3d2fb0, v155
	v_add_f32_e32 v134, v179, v134
	v_fma_f32 v179, 0xbe8c1d8e, v169, -v217
	v_fma_f32 v132, 0x3dbcf732, v136, -v224
	s_delay_alu instid0(VALU_DEP_4) | instskip(SKIP_3) | instid1(VALU_DEP_4)
	v_dual_fmac_f32 v224, 0x3dbcf732, v136 :: v_dual_add_f32 v135, v218, v135
	v_add_f32_e32 v170, v172, v170
	v_fmamk_f32 v172, v143, 0x3f6eb680, v196
	v_mul_f32_e32 v217, 0x3ee437d1, v158
	v_dual_mul_f32 v214, 0x3f65296c, v137 :: v_dual_add_f32 v135, v219, v135
	s_delay_alu instid0(VALU_DEP_3) | instskip(SKIP_2) | instid1(VALU_DEP_4)
	v_dual_add_f32 v134, v179, v134 :: v_dual_add_f32 v171, v172, v171
	v_fmamk_f32 v172, v150, 0x3e3c28d5, v208
	v_mul_f32_e32 v213, 0x3ee437d1, v186
	v_add_f32_e32 v135, v220, v135
	v_mul_f32_e32 v218, 0xbf7ba420, v163
	s_delay_alu instid0(VALU_DEP_4) | instskip(NEXT) | instid1(VALU_DEP_3)
	v_dual_mul_f32 v219, 0x3f06c442, v145 :: v_dual_add_f32 v170, v172, v170
	v_dual_fmamk_f32 v172, v155, 0xbf59a7d5, v209 :: v_dual_add_f32 v179, v221, v135
	v_fma_f32 v135, 0x3dbcf732, v186, -v223
	v_mul_f32_e32 v220, 0x3f2c7751, v147
	v_add_f32_e32 v132, v132, v222
	s_delay_alu instid0(VALU_DEP_4) | instskip(NEXT) | instid1(VALU_DEP_4)
	v_dual_add_f32 v171, v172, v171 :: v_dual_fmamk_f32 v172, v153, 0x3dbcf732, v210
	v_dual_add_f32 v135, v135, v134 :: v_dual_add_f32 v134, v224, v179
	v_mul_f32_e32 v222, 0xbf65296c, v157
	v_mul_f32_e32 v223, 0xbe3c28d5, v159
	s_delay_alu instid0(VALU_DEP_4) | instskip(SKIP_2) | instid1(VALU_DEP_3)
	v_dual_add_f32 v171, v172, v171 :: v_dual_fmamk_f32 v172, v141, 0x3f3d2fb0, v211
	v_dual_mul_f32 v224, 0x3f7ee86f, v160 :: v_dual_mov_b32 v97, v93
	v_dual_mov_b32 v96, v92 :: v_dual_mov_b32 v95, v91
	v_dual_add_f32 v171, v172, v171 :: v_dual_fmamk_f32 v172, v151, 0xbf7ba420, v212
	v_dual_mov_b32 v94, v90 :: v_dual_mov_b32 v93, v89
	v_dual_mov_b32 v92, v88 :: v_dual_mov_b32 v91, v87
	s_delay_alu instid0(VALU_DEP_3) | instskip(SKIP_2) | instid1(VALU_DEP_3)
	v_dual_add_f32 v172, v172, v171 :: v_dual_fmamk_f32 v171, v138, 0xbf65296c, v213
	v_dual_mov_b32 v90, v86 :: v_dual_mov_b32 v89, v85
	v_dual_mov_b32 v88, v84 :: v_dual_mov_b32 v87, v83
	v_dual_add_f32 v171, v171, v170 :: v_dual_fmamk_f32 v170, v136, 0x3ee437d1, v214
	v_dual_mov_b32 v86, v82 :: v_dual_mov_b32 v85, v81
	v_dual_mov_b32 v84, v80 :: v_dual_mov_b32 v83, v63
	s_delay_alu instid0(VALU_DEP_3) | instskip(SKIP_3) | instid1(VALU_DEP_3)
	v_add_f32_e32 v170, v170, v172
	v_fmamk_f32 v172, v146, 0xbf06c442, v215
	v_dual_mov_b32 v82, v62 :: v_dual_mov_b32 v81, v61
	v_dual_mov_b32 v80, v60 :: v_dual_mov_b32 v63, v59
	v_add_f32_e32 v172, v172, v174
	v_dual_mov_b32 v62, v58 :: v_dual_mov_b32 v61, v57
	v_dual_mov_b32 v60, v56 :: v_dual_mov_b32 v59, v51
	s_delay_alu instid0(VALU_DEP_3) | instskip(SKIP_2) | instid1(VALU_DEP_3)
	v_dual_add_f32 v172, v173, v172 :: v_dual_fmamk_f32 v173, v154, 0x3f65296c, v217
	v_dual_mov_b32 v58, v50 :: v_dual_mov_b32 v57, v49
	v_dual_mov_b32 v56, v48 :: v_dual_mov_b32 v51, v27
	v_dual_add_f32 v172, v173, v172 :: v_dual_fmamk_f32 v173, v152, 0x3e3c28d5, v218
	v_dual_mov_b32 v49, v25 :: v_dual_mov_b32 v48, v24
	v_dual_mov_b32 v79, v75 :: v_dual_mov_b32 v78, v74
	s_delay_alu instid0(VALU_DEP_3) | instskip(SKIP_3) | instid1(VALU_DEP_4)
	v_dual_add_f32 v172, v173, v172 :: v_dual_fmamk_f32 v173, v144, 0xbf59a7d5, v219
	v_dual_mov_b32 v76, v72 :: v_dual_mov_b32 v77, v73
	v_mov_b32_e32 v75, v47
	v_mov_b32_e32 v73, v45
	v_add_f32_e32 v173, v173, v188
	v_mul_f32_e32 v188, 0x3dbcf732, v168
	v_mov_b32_e32 v74, v46
	v_dual_mov_b32 v72, v44 :: v_dual_mov_b32 v47, v23
	v_mov_b32_e32 v46, v22
	s_delay_alu instid0(VALU_DEP_4) | instskip(SKIP_2) | instid1(VALU_DEP_3)
	v_fmamk_f32 v174, v140, 0xbf7ee86f, v188
	v_dual_mov_b32 v44, v20 :: v_dual_mov_b32 v45, v21
	v_dual_mov_b32 v22, v203 :: v_dual_mov_b32 v23, v204
	v_add_f32_e32 v172, v174, v172
	v_fmamk_f32 v174, v143, 0x3f3d2fb0, v220
	v_mul_f32_e32 v221, 0x3f6eb680, v169
	v_dual_mul_f32 v203, 0xbf7ee86f, v145 :: v_dual_mov_b32 v20, v199
	v_mov_b32_e32 v21, v200
	s_delay_alu instid0(VALU_DEP_4) | instskip(NEXT) | instid1(VALU_DEP_4)
	v_add_f32_e32 v173, v174, v173
	v_fmamk_f32 v174, v150, 0x3eb8f4ab, v221
	v_mul_f32_e32 v199, 0xbf7ba420, v158
	v_mul_f32_e32 v200, 0xbf59a7d5, v163
	v_dual_mul_f32 v163, 0xbe8c1d8e, v163 :: v_dual_mov_b32 v182, v12
	s_delay_alu instid0(VALU_DEP_4) | instskip(SKIP_4) | instid1(VALU_DEP_4)
	v_add_f32_e32 v172, v174, v172
	v_fmamk_f32 v174, v155, 0x3ee437d1, v222
	v_dual_fmac_f32 v221, 0xbeb8f4ab, v150 :: v_dual_mov_b32 v40, v16
	v_dual_mov_b32 v183, v13 :: v_dual_mul_f32 v14, 0xbf7ee86f, v157
	v_mov_b32_e32 v41, v17
	v_dual_add_f32 v173, v174, v173 :: v_dual_fmamk_f32 v174, v153, 0xbf7ba420, v223
	v_mul_f32_e32 v18, 0xbe3c28d5, v137
	s_delay_alu instid0(VALU_DEP_4) | instskip(SKIP_1) | instid1(VALU_DEP_4)
	v_fmamk_f32 v15, v155, 0x3dbcf732, v14
	v_mul_f32_e32 v12, 0xbf65296c, v147
	v_dual_mul_f32 v160, 0xbf4c4adb, v160 :: v_dual_add_f32 v173, v174, v173
	v_fmamk_f32 v174, v141, 0x3dbcf732, v224
	v_mul_f32_e32 v16, 0xbf06c442, v167
	s_delay_alu instid0(VALU_DEP_4) | instskip(SKIP_1) | instid1(VALU_DEP_4)
	v_fmamk_f32 v13, v143, 0x3ee437d1, v12
	v_fma_f32 v12, 0x3ee437d1, v143, -v12
	v_dual_fmac_f32 v180, 0x3f763a35, v146 :: v_dual_add_f32 v173, v174, v173
	v_fmamk_f32 v174, v151, 0x3f6eb680, v225
	v_fmac_f32_e32 v208, 0xbe3c28d5, v150
	v_fmac_f32_e32 v194, 0x3f7ee86f, v152
	v_fmac_f32_e32 v216, 0x3f2c7751, v142
	s_delay_alu instid0(VALU_DEP_4) | instskip(SKIP_1) | instid1(VALU_DEP_1)
	v_add_f32_e32 v174, v174, v173
	v_fmamk_f32 v173, v138, 0x3f4c4adb, v226
	v_dual_add_f32 v173, v173, v172 :: v_dual_fmamk_f32 v172, v136, 0xbf1a4643, v227
	v_fmac_f32_e32 v218, 0xbe3c28d5, v152
	s_delay_alu instid0(VALU_DEP_2) | instskip(SKIP_1) | instid1(VALU_DEP_1)
	v_add_f32_e32 v172, v172, v174
	v_fmamk_f32 v174, v146, 0x3e3c28d5, v228
	v_add_f32_e32 v174, v174, v175
	v_fmamk_f32 v175, v142, 0xbf763a35, v229
	s_delay_alu instid0(VALU_DEP_1) | instskip(NEXT) | instid1(VALU_DEP_1)
	v_dual_add_f32 v174, v175, v174 :: v_dual_fmamk_f32 v175, v154, 0xbeb8f4ab, v230
	v_dual_add_f32 v174, v175, v174 :: v_dual_fmamk_f32 v175, v152, 0x3f65296c, v231
	s_delay_alu instid0(VALU_DEP_1) | instskip(SKIP_2) | instid1(VALU_DEP_2)
	v_dual_fmac_f32 v231, 0xbf65296c, v152 :: v_dual_add_f32 v174, v175, v174
	v_fmamk_f32 v175, v144, 0xbf7ba420, v232
	v_fmac_f32_e32 v229, 0x3f763a35, v142
	v_add_f32_e32 v175, v175, v189
	v_mul_f32_e32 v189, 0xbf59a7d5, v168
	s_delay_alu instid0(VALU_DEP_1) | instskip(NEXT) | instid1(VALU_DEP_1)
	v_fmamk_f32 v177, v140, 0x3f06c442, v189
	v_dual_add_f32 v174, v177, v174 :: v_dual_fmamk_f32 v177, v143, 0xbe8c1d8e, v233
	s_delay_alu instid0(VALU_DEP_1) | instskip(SKIP_1) | instid1(VALU_DEP_1)
	v_add_f32_e32 v175, v177, v175
	v_fmamk_f32 v177, v150, 0xbf4c4adb, v234
	v_dual_add_f32 v174, v177, v174 :: v_dual_fmamk_f32 v177, v155, 0x3f6eb680, v235
	s_delay_alu instid0(VALU_DEP_1) | instskip(SKIP_1) | instid1(VALU_DEP_1)
	v_dual_fmac_f32 v230, 0x3eb8f4ab, v154 :: v_dual_add_f32 v175, v177, v175
	v_fmamk_f32 v177, v153, 0x3ee437d1, v236
	v_dual_fmac_f32 v188, 0x3f7ee86f, v140 :: v_dual_add_f32 v175, v177, v175
	v_fmamk_f32 v177, v141, 0xbf59a7d5, v237
	s_delay_alu instid0(VALU_DEP_1) | instskip(SKIP_1) | instid1(VALU_DEP_1)
	v_add_f32_e32 v175, v177, v175
	v_fmamk_f32 v177, v151, 0xbf1a4643, v238
	v_dual_fmac_f32 v226, 0xbf4c4adb, v138 :: v_dual_add_f32 v177, v177, v175
	v_fmamk_f32 v175, v138, 0xbf2c7751, v239
	s_delay_alu instid0(VALU_DEP_1) | instskip(NEXT) | instid1(VALU_DEP_1)
	v_dual_add_f32 v175, v175, v174 :: v_dual_fmamk_f32 v174, v136, 0x3f3d2fb0, v242
	v_dual_fmac_f32 v239, 0x3f2c7751, v138 :: v_dual_add_f32 v174, v174, v177
	v_fmamk_f32 v177, v146, 0x3f4c4adb, v243
	s_delay_alu instid0(VALU_DEP_1) | instskip(SKIP_1) | instid1(VALU_DEP_1)
	v_dual_fmac_f32 v243, 0xbf4c4adb, v146 :: v_dual_add_f32 v176, v177, v176
	v_fmamk_f32 v177, v142, 0xbe3c28d5, v245
	v_dual_add_f32 v176, v177, v176 :: v_dual_mul_f32 v247, 0xbe8c1d8e, v158
	s_delay_alu instid0(VALU_DEP_1) | instskip(NEXT) | instid1(VALU_DEP_1)
	v_fmamk_f32 v177, v154, 0xbf763a35, v247
	v_dual_add_f32 v176, v177, v176 :: v_dual_fmamk_f32 v177, v152, 0xbf2c7751, v248
	v_fmac_f32_e32 v248, 0x3f2c7751, v152
	s_delay_alu instid0(VALU_DEP_2) | instskip(SKIP_1) | instid1(VALU_DEP_2)
	v_dual_add_f32 v176, v177, v176 :: v_dual_fmamk_f32 v177, v144, 0xbf1a4643, v249
	v_fmac_f32_e32 v234, 0x3f4c4adb, v150
	v_dual_add_f32 v177, v177, v190 :: v_dual_mul_f32 v190, 0x3f6eb680, v168
	v_fmac_f32_e32 v181, 0xbeb8f4ab, v142
	s_delay_alu instid0(VALU_DEP_2) | instskip(SKIP_1) | instid1(VALU_DEP_2)
	v_fmamk_f32 v178, v140, 0x3eb8f4ab, v190
	v_fmac_f32_e32 v190, 0xbeb8f4ab, v140
	v_add_f32_e32 v176, v178, v176
	v_fmamk_f32 v178, v143, 0xbf7ba420, v250
	v_fmac_f32_e32 v245, 0x3e3c28d5, v142
	s_delay_alu instid0(VALU_DEP_2) | instskip(SKIP_1) | instid1(VALU_DEP_1)
	v_add_f32_e32 v177, v178, v177
	v_fmamk_f32 v178, v150, 0x3f7ee86f, v251
	v_add_f32_e32 v176, v178, v176
	v_fmamk_f32 v178, v155, 0xbe8c1d8e, v252
	v_mov_b32_e32 v50, v26
	v_dual_mov_b32 v26, v240 :: v_dual_mov_b32 v27, v241
	s_delay_alu instid0(VALU_DEP_3) | instskip(SKIP_4) | instid1(VALU_DEP_4)
	v_dual_mul_f32 v240, 0xbf59a7d5, v186 :: v_dual_add_f32 v177, v178, v177
	v_fmamk_f32 v178, v153, 0x3f3d2fb0, v253
	v_dual_mul_f32 v241, 0xbf06c442, v137 :: v_dual_mov_b32 v24, v205
	v_mov_b32_e32 v25, v206
	v_fmac_f32_e32 v215, 0x3f06c442, v146
	v_dual_add_f32 v177, v178, v177 :: v_dual_fmamk_f32 v178, v141, 0x3f6eb680, v254
	s_delay_alu instid0(VALU_DEP_1) | instskip(SKIP_1) | instid1(VALU_DEP_1)
	v_dual_fmac_f32 v228, 0xbe3c28d5, v146 :: v_dual_add_f32 v177, v178, v177
	v_fmamk_f32 v178, v151, 0x3dbcf732, v255
	v_add_f32_e32 v178, v178, v177
	v_fmamk_f32 v177, v138, 0x3f06c442, v240
	v_fmac_f32_e32 v217, 0xbf65296c, v154
	v_dual_fmac_f32 v189, 0xbf06c442, v140 :: v_dual_fmac_f32 v240, 0xbf06c442, v138
	s_delay_alu instid0(VALU_DEP_3) | instskip(NEXT) | instid1(VALU_DEP_1)
	v_dual_add_f32 v177, v177, v176 :: v_dual_fmamk_f32 v176, v136, 0xbf59a7d5, v241
	v_add_f32_e32 v176, v176, v178
	v_fmamk_f32 v178, v146, 0x3f7ee86f, v246
	v_fmac_f32_e32 v246, 0xbf7ee86f, v146
	s_delay_alu instid0(VALU_DEP_2) | instskip(SKIP_1) | instid1(VALU_DEP_2)
	v_dual_add_f32 v178, v178, v197 :: v_dual_mul_f32 v197, 0xbf1a4643, v156
	v_mul_f32_e32 v145, 0xbf2c7751, v145
	v_fmamk_f32 v179, v142, 0x3f4c4adb, v197
	v_fmac_f32_e32 v197, 0xbf4c4adb, v142
	s_delay_alu instid0(VALU_DEP_2) | instskip(SKIP_3) | instid1(VALU_DEP_4)
	v_dual_add_f32 v178, v179, v178 :: v_dual_fmamk_f32 v179, v154, 0x3e3c28d5, v199
	v_fmac_f32_e32 v187, 0xbf2c7751, v140
	v_fmac_f32_e32 v213, 0x3f65296c, v138
	;; [unrolled: 1-line block ×3, first 2 shown]
	v_dual_add_f32 v178, v179, v178 :: v_dual_fmamk_f32 v179, v152, 0xbf06c442, v200
	v_fmac_f32_e32 v193, 0xbf06c442, v154
	v_fmac_f32_e32 v200, 0x3f06c442, v152
	s_delay_alu instid0(VALU_DEP_3) | instskip(SKIP_1) | instid1(VALU_DEP_2)
	v_dual_add_f32 v178, v179, v178 :: v_dual_fmamk_f32 v179, v144, 0x3dbcf732, v203
	v_fmamk_f32 v17, v151, 0xbf59a7d5, v16
	v_add_f32_e32 v179, v179, v191
	v_mul_f32_e32 v191, 0xbe8c1d8e, v168
	s_delay_alu instid0(VALU_DEP_1) | instskip(NEXT) | instid1(VALU_DEP_1)
	v_fmamk_f32 v204, v140, 0xbf763a35, v191
	v_dual_fmac_f32 v191, 0x3f763a35, v140 :: v_dual_add_f32 v178, v204, v178
	v_mul_f32_e32 v204, 0xbf4c4adb, v147
	s_delay_alu instid0(VALU_DEP_1) | instskip(NEXT) | instid1(VALU_DEP_1)
	v_fmamk_f32 v205, v143, 0xbf1a4643, v204
	v_add_f32_e32 v179, v205, v179
	v_mul_f32_e32 v205, 0x3ee437d1, v169
	s_delay_alu instid0(VALU_DEP_1) | instskip(SKIP_1) | instid1(VALU_DEP_2)
	v_fmamk_f32 v206, v150, 0xbf65296c, v205
	v_fmac_f32_e32 v205, 0x3f65296c, v150
	v_add_f32_e32 v178, v206, v178
	v_mul_f32_e32 v206, 0xbe3c28d5, v157
	s_delay_alu instid0(VALU_DEP_1) | instskip(NEXT) | instid1(VALU_DEP_1)
	v_fmamk_f32 v139, v155, 0xbf7ba420, v206
	v_add_f32_e32 v139, v139, v179
	s_delay_alu instid0(VALU_DEP_1) | instskip(NEXT) | instid1(VALU_DEP_1)
	v_add_f32_e32 v1, v1, v139
	v_add_f32_e32 v1, v3, v1
	v_mul_f32_e32 v3, 0x3f65296c, v167
	v_fma_f32 v137, 0xbf1a4643, v143, -v204
	s_delay_alu instid0(VALU_DEP_2) | instskip(SKIP_1) | instid1(VALU_DEP_2)
	v_fmamk_f32 v139, v151, 0x3ee437d1, v3
	v_fma_f32 v3, 0x3ee437d1, v151, -v3
	v_add_f32_e32 v1, v139, v1
	v_mul_f32_e32 v139, 0x3f6eb680, v186
	v_fma_f32 v0, 0xbf59a7d5, v153, -v0
	s_delay_alu instid0(VALU_DEP_2) | instskip(SKIP_1) | instid1(VALU_DEP_2)
	v_fmamk_f32 v179, v138, 0xbeb8f4ab, v139
	v_fmac_f32_e32 v139, 0x3eb8f4ab, v138
	v_dual_add_f32 v179, v179, v178 :: v_dual_add_f32 v178, v5, v1
	v_mul_f32_e32 v1, 0x3f3d2fb0, v148
	s_delay_alu instid0(VALU_DEP_1) | instskip(NEXT) | instid1(VALU_DEP_1)
	v_fmamk_f32 v5, v146, 0x3f2c7751, v1
	v_dual_add_f32 v5, v5, v198 :: v_dual_mul_f32 v6, 0x3ee437d1, v156
	v_mul_f32_e32 v198, 0xbf1a4643, v168
	v_fma_f32 v2, 0xbe8c1d8e, v141, -v2
	s_delay_alu instid0(VALU_DEP_3) | instskip(NEXT) | instid1(VALU_DEP_1)
	v_fmamk_f32 v7, v142, 0x3f65296c, v6
	v_add_f32_e32 v5, v7, v5
	v_mul_f32_e32 v7, 0x3dbcf732, v158
	v_fmac_f32_e32 v6, 0xbf65296c, v142
	s_delay_alu instid0(VALU_DEP_2) | instskip(NEXT) | instid1(VALU_DEP_1)
	v_fmamk_f32 v148, v154, 0x3f7ee86f, v7
	v_add_f32_e32 v5, v148, v5
	v_fmamk_f32 v148, v152, 0x3f763a35, v163
	s_delay_alu instid0(VALU_DEP_1) | instskip(SKIP_1) | instid1(VALU_DEP_1)
	v_add_f32_e32 v5, v148, v5
	v_fmamk_f32 v148, v140, 0x3f4c4adb, v198
	v_dual_fmac_f32 v198, 0xbf4c4adb, v140 :: v_dual_add_f32 v5, v148, v5
	v_fmamk_f32 v148, v144, 0x3f3d2fb0, v145
	s_delay_alu instid0(VALU_DEP_1) | instskip(NEXT) | instid1(VALU_DEP_1)
	v_dual_fmac_f32 v1, 0xbf2c7751, v146 :: v_dual_add_f32 v148, v148, v192
	v_dual_mul_f32 v192, 0xbf59a7d5, v169 :: v_dual_add_f32 v13, v13, v148
	s_delay_alu instid0(VALU_DEP_1) | instskip(NEXT) | instid1(VALU_DEP_2)
	v_fmamk_f32 v156, v150, 0x3f06c442, v192
	v_dual_fmac_f32 v192, 0xbf06c442, v150 :: v_dual_add_f32 v13, v15, v13
	v_mul_f32_e32 v15, 0xbf763a35, v159
	s_delay_alu instid0(VALU_DEP_3) | instskip(NEXT) | instid1(VALU_DEP_2)
	v_add_f32_e32 v5, v156, v5
	v_fmamk_f32 v147, v153, 0xbe8c1d8e, v15
	s_delay_alu instid0(VALU_DEP_1) | instskip(SKIP_1) | instid1(VALU_DEP_1)
	v_add_f32_e32 v13, v147, v13
	v_fmamk_f32 v147, v141, 0xbf1a4643, v160
	v_add_f32_e32 v13, v147, v13
	s_delay_alu instid0(VALU_DEP_1) | instskip(SKIP_1) | instid1(VALU_DEP_1)
	v_add_f32_e32 v13, v17, v13
	v_mul_f32_e32 v17, 0xbf7ba420, v186
	v_fmamk_f32 v19, v138, 0x3e3c28d5, v17
	s_delay_alu instid0(VALU_DEP_1) | instskip(SKIP_1) | instid1(VALU_DEP_2)
	v_dual_add_f32 v148, v19, v5 :: v_dual_fmamk_f32 v5, v136, 0xbf7ba420, v18
	v_fma_f32 v19, 0x3f6eb680, v143, -v196
	v_add_f32_e32 v147, v5, v13
	v_fma_f32 v13, 0xbe8c1d8e, v144, -v195
	v_add_f32_e32 v5, v180, v201
	s_delay_alu instid0(VALU_DEP_2) | instskip(NEXT) | instid1(VALU_DEP_2)
	v_add_f32_e32 v13, v13, v38
	v_add_f32_e32 v5, v181, v5
	s_delay_alu instid0(VALU_DEP_2) | instskip(SKIP_1) | instid1(VALU_DEP_3)
	v_add_f32_e32 v13, v19, v13
	v_fma_f32 v19, 0xbf59a7d5, v155, -v209
	v_add_f32_e32 v5, v193, v5
	s_delay_alu instid0(VALU_DEP_2) | instskip(SKIP_1) | instid1(VALU_DEP_3)
	v_add_f32_e32 v13, v19, v13
	v_fma_f32 v19, 0x3dbcf732, v153, -v210
	;; [unrolled: 4-line block ×5, first 2 shown]
	v_add_f32_e32 v157, v213, v5
	v_add_f32_e32 v5, v215, v166
	s_delay_alu instid0(VALU_DEP_3) | instskip(SKIP_2) | instid1(VALU_DEP_4)
	v_add_f32_e32 v156, v19, v13
	v_fma_f32 v13, 0xbf59a7d5, v144, -v219
	v_fma_f32 v19, 0x3f3d2fb0, v143, -v220
	v_add_f32_e32 v5, v216, v5
	s_delay_alu instid0(VALU_DEP_3) | instskip(NEXT) | instid1(VALU_DEP_2)
	v_add_f32_e32 v13, v13, v39
	v_add_f32_e32 v5, v217, v5
	s_delay_alu instid0(VALU_DEP_2) | instskip(SKIP_1) | instid1(VALU_DEP_3)
	v_add_f32_e32 v13, v19, v13
	v_fma_f32 v19, 0x3ee437d1, v155, -v222
	v_add_f32_e32 v5, v218, v5
	s_delay_alu instid0(VALU_DEP_2) | instskip(SKIP_1) | instid1(VALU_DEP_3)
	v_add_f32_e32 v13, v19, v13
	v_fma_f32 v19, 0xbf7ba420, v153, -v223
	v_add_f32_e32 v5, v188, v5
	s_delay_alu instid0(VALU_DEP_2) | instskip(SKIP_1) | instid1(VALU_DEP_3)
	v_add_f32_e32 v13, v19, v13
	v_fma_f32 v19, 0x3dbcf732, v141, -v224
	v_add_f32_e32 v5, v221, v5
	s_delay_alu instid0(VALU_DEP_2) | instskip(SKIP_1) | instid1(VALU_DEP_3)
	v_add_f32_e32 v13, v19, v13
	v_fma_f32 v19, 0x3f6eb680, v151, -v225
	v_add_f32_e32 v159, v226, v5
	v_add_f32_e32 v5, v228, v202
	s_delay_alu instid0(VALU_DEP_3) | instskip(SKIP_1) | instid1(VALU_DEP_3)
	v_add_f32_e32 v13, v19, v13
	v_fma_f32 v19, 0xbf1a4643, v136, -v227
	v_add_f32_e32 v5, v229, v5
	s_delay_alu instid0(VALU_DEP_2) | instskip(SKIP_2) | instid1(VALU_DEP_4)
	v_add_f32_e32 v158, v19, v13
	v_fma_f32 v13, 0xbf7ba420, v144, -v232
	v_fma_f32 v19, 0xbe8c1d8e, v143, -v233
	v_add_f32_e32 v5, v230, v5
	v_fmac_f32_e32 v7, 0xbf7ee86f, v154
	s_delay_alu instid0(VALU_DEP_4) | instskip(NEXT) | instid1(VALU_DEP_3)
	v_add_f32_e32 v13, v13, v37
	v_add_f32_e32 v5, v231, v5
	s_delay_alu instid0(VALU_DEP_2) | instskip(SKIP_1) | instid1(VALU_DEP_3)
	v_add_f32_e32 v13, v19, v13
	v_fma_f32 v19, 0x3f6eb680, v155, -v235
	v_add_f32_e32 v5, v189, v5
	s_delay_alu instid0(VALU_DEP_2) | instskip(SKIP_1) | instid1(VALU_DEP_3)
	v_add_f32_e32 v13, v19, v13
	v_fma_f32 v19, 0x3ee437d1, v153, -v236
	;; [unrolled: 4-line block ×3, first 2 shown]
	v_add_f32_e32 v167, v239, v5
	s_delay_alu instid0(VALU_DEP_2) | instskip(SKIP_1) | instid1(VALU_DEP_1)
	v_add_f32_e32 v13, v19, v13
	v_fma_f32 v19, 0xbf1a4643, v151, -v238
	v_add_f32_e32 v13, v19, v13
	v_fma_f32 v19, 0x3f3d2fb0, v136, -v242
	s_delay_alu instid0(VALU_DEP_1) | instskip(SKIP_3) | instid1(VALU_DEP_3)
	v_add_f32_e32 v166, v19, v13
	v_fma_f32 v13, 0xbf1a4643, v144, -v249
	v_fma_f32 v19, 0xbf7ba420, v143, -v250
	v_fmac_f32_e32 v163, 0xbf763a35, v152
	v_add_f32_e32 v13, v13, v149
	s_delay_alu instid0(VALU_DEP_1) | instskip(SKIP_1) | instid1(VALU_DEP_1)
	v_add_f32_e32 v13, v19, v13
	v_fma_f32 v19, 0xbe8c1d8e, v155, -v252
	v_add_f32_e32 v13, v19, v13
	v_fma_f32 v19, 0x3f3d2fb0, v153, -v253
	s_delay_alu instid0(VALU_DEP_1) | instskip(SKIP_1) | instid1(VALU_DEP_1)
	v_add_f32_e32 v13, v19, v13
	v_fma_f32 v19, 0x3f6eb680, v141, -v254
	v_add_f32_e32 v13, v19, v13
	v_fma_f32 v19, 0x3dbcf732, v151, -v255
	;; [unrolled: 5-line block ×3, first 2 shown]
	v_dual_mov_b32 v204, v23 :: v_dual_mov_b32 v203, v22
	s_delay_alu instid0(VALU_DEP_2) | instskip(NEXT) | instid1(VALU_DEP_1)
	v_add_f32_e32 v13, v13, v161
	v_add_f32_e32 v13, v137, v13
	v_fma_f32 v137, 0xbf7ba420, v155, -v206
	s_delay_alu instid0(VALU_DEP_1) | instskip(NEXT) | instid1(VALU_DEP_1)
	v_add_f32_e32 v13, v137, v13
	v_dual_add_f32 v5, v243, v207 :: v_dual_add_f32 v0, v0, v13
	s_delay_alu instid0(VALU_DEP_1) | instskip(NEXT) | instid1(VALU_DEP_2)
	v_add_f32_e32 v5, v245, v5
	v_dual_fmac_f32 v247, 0x3f763a35, v154 :: v_dual_add_f32 v0, v2, v0
	s_delay_alu instid0(VALU_DEP_1) | instskip(NEXT) | instid1(VALU_DEP_2)
	v_add_f32_e32 v5, v247, v5
	v_dual_add_f32 v0, v3, v0 :: v_dual_fmac_f32 v251, 0xbf7ee86f, v150
	s_delay_alu instid0(VALU_DEP_2) | instskip(SKIP_1) | instid1(VALU_DEP_2)
	v_add_f32_e32 v5, v248, v5
	v_fma_f32 v3, 0xbf59a7d5, v151, -v16
	v_add_f32_e32 v5, v190, v5
	s_delay_alu instid0(VALU_DEP_1) | instskip(NEXT) | instid1(VALU_DEP_1)
	v_add_f32_e32 v5, v251, v5
	v_add_f32_e32 v169, v240, v5
	v_dual_mov_b32 v241, v27 :: v_dual_mov_b32 v240, v26
	scratch_load_b32 v26, off, off offset:296 ; 4-byte Folded Reload
	v_fma_f32 v19, 0x3f3d2fb0, v144, -v145
	v_dual_add_f32 v5, v246, v162 :: v_dual_mov_b32 v246, v36
	v_mov_b32_e32 v36, v68
	v_dual_mov_b32 v38, v70 :: v_dual_mov_b32 v39, v71
	s_delay_alu instid0(VALU_DEP_3) | instskip(NEXT) | instid1(VALU_DEP_1)
	v_add_f32_e32 v5, v197, v5
	v_add_f32_e32 v5, v199, v5
	s_delay_alu instid0(VALU_DEP_1) | instskip(SKIP_2) | instid1(VALU_DEP_3)
	v_dual_add_f32 v5, v200, v5 :: v_dual_mov_b32 v200, v21
	v_mov_b32_e32 v199, v20
	v_dual_mov_b32 v20, v44 :: v_dual_fmac_f32 v17, 0xbe3c28d5, v138
	v_add_f32_e32 v5, v191, v5
	v_dual_mov_b32 v21, v45 :: v_dual_mov_b32 v22, v46
	v_dual_mov_b32 v23, v47 :: v_dual_mov_b32 v44, v72
	s_delay_alu instid0(VALU_DEP_3) | instskip(SKIP_3) | instid1(VALU_DEP_4)
	v_add_f32_e32 v5, v205, v5
	v_dual_mov_b32 v206, v25 :: v_dual_mov_b32 v205, v24
	v_dual_mov_b32 v45, v73 :: v_dual_mov_b32 v46, v74
	v_dual_mov_b32 v47, v75 :: v_dual_mov_b32 v72, v76
	v_add_f32_e32 v137, v139, v5
	v_dual_mov_b32 v73, v77 :: v_dual_mov_b32 v74, v78
	v_mov_b32_e32 v75, v79
	s_waitcnt vmcnt(0)
	v_add_f32_e32 v1, v1, v26
	scratch_load_b32 v26, off, off offset:300 ; 4-byte Folded Reload
	v_add_f32_e32 v1, v6, v1
	s_delay_alu instid0(VALU_DEP_1) | instskip(SKIP_1) | instid1(VALU_DEP_2)
	v_add_f32_e32 v1, v7, v1
	v_fma_f32 v7, 0xbe8c1d8e, v153, -v15
	v_add_f32_e32 v1, v163, v1
	s_delay_alu instid0(VALU_DEP_1) | instskip(NEXT) | instid1(VALU_DEP_1)
	v_add_f32_e32 v1, v198, v1
	v_add_f32_e32 v1, v192, v1
	s_delay_alu instid0(VALU_DEP_1) | instskip(SKIP_3) | instid1(VALU_DEP_2)
	v_add_f32_e32 v139, v17, v1
	s_waitcnt vmcnt(0)
	v_dual_add_f32 v19, v19, v26 :: v_dual_mov_b32 v24, v48
	v_dual_mov_b32 v25, v49 :: v_dual_mov_b32 v26, v50
	v_dual_mov_b32 v27, v51 :: v_dual_add_f32 v6, v12, v19
	v_fma_f32 v12, 0x3dbcf732, v155, -v14
	v_dual_mov_b32 v48, v56 :: v_dual_mov_b32 v49, v57
	v_dual_mov_b32 v50, v58 :: v_dual_mov_b32 v51, v59
	s_delay_alu instid0(VALU_DEP_3) | instskip(SKIP_2) | instid1(VALU_DEP_3)
	v_add_f32_e32 v6, v12, v6
	v_dual_mov_b32 v56, v60 :: v_dual_mov_b32 v57, v61
	v_dual_mov_b32 v58, v62 :: v_dual_mov_b32 v59, v63
	v_add_f32_e32 v2, v7, v6
	v_fma_f32 v6, 0xbf1a4643, v141, -v160
	v_dual_mov_b32 v60, v80 :: v_dual_mov_b32 v61, v81
	v_dual_mov_b32 v62, v82 :: v_dual_mov_b32 v63, v83
	s_delay_alu instid0(VALU_DEP_3)
	v_add_f32_e32 v2, v6, v2
	scratch_load_b32 v6, off, off offset:292 ; 4-byte Folded Reload
	v_dual_mov_b32 v80, v84 :: v_dual_mov_b32 v81, v85
	v_mov_b32_e32 v82, v86
	v_add_f32_e32 v2, v3, v2
	v_dual_mov_b32 v83, v87 :: v_dual_mov_b32 v84, v88
	v_dual_mov_b32 v85, v89 :: v_dual_mov_b32 v86, v90
	;; [unrolled: 1-line block ×20, first 2 shown]
	v_mov_b32_e32 v123, v127
	v_dual_mov_b32 v127, v11 :: v_dual_mov_b32 v12, v182
	v_fma_f32 v3, 0xbf7ba420, v136, -v18
	v_dual_mov_b32 v16, v40 :: v_dual_mov_b32 v37, v69
	v_dual_mov_b32 v126, v10 :: v_dual_mov_b32 v125, v9
	s_delay_alu instid0(VALU_DEP_3)
	v_add_f32_e32 v138, v3, v2
	v_dual_mov_b32 v124, v8 :: v_dual_mov_b32 v13, v183
	v_dual_mov_b32 v14, v184 :: v_dual_mov_b32 v15, v185
	;; [unrolled: 1-line block ×3, first 2 shown]
	v_dual_mov_b32 v19, v43 :: v_dual_add_f32 v136, v4, v0
	s_waitcnt vmcnt(0)
	v_mul_u32_u24_e32 v6, 17, v6
	s_delay_alu instid0(VALU_DEP_1)
	v_lshlrev_b32_e32 v6, 3, v6
	ds_store_2addr_b64 v6, v[128:129], v[147:148] offset1:1
	ds_store_2addr_b64 v6, v[178:179], v[176:177] offset0:2 offset1:3
	ds_store_2addr_b64 v6, v[174:175], v[172:173] offset0:4 offset1:5
	;; [unrolled: 1-line block ×7, first 2 shown]
	ds_store_b64 v6, v[138:139] offset:128
.LBB0_13:
	s_or_b32 exec_lo, exec_lo, s0
	s_waitcnt lgkmcnt(0)
	s_waitcnt_vscnt null, 0x0
	s_barrier
	buffer_gl0_inv
	scratch_load_b128 v[1:4], off, off offset:196 ; 16-byte Folded Reload
	ds_load_b64 v[129:130], v244 offset:13056
	v_add_nc_u32_e32 v78, 0x1c00, v244
	v_add_nc_u32_e32 v68, 0x2c00, v244
	s_mov_b32 s2, 0x87d568ce
	s_mov_b32 s3, 0x3f437851
	s_mul_hi_u32 s1, s4, 0x63
	s_waitcnt lgkmcnt(0)
	v_mul_f32_e32 v0, v63, v129
	v_mul_f32_e32 v128, v63, v130
	s_delay_alu instid0(VALU_DEP_2)
	v_fma_f32 v79, v62, v130, -v0
	ds_load_2addr_b64 v[130:133], v78 offset0:124 offset1:175
	v_fmac_f32_e32 v128, v62, v129
	v_add_nc_u32_e32 v62, 0x1800, v244
	s_waitcnt lgkmcnt(0)
	v_mul_f32_e32 v0, v61, v132
	v_mul_f32_e32 v129, v61, v133
	;; [unrolled: 1-line block ×3, first 2 shown]
	s_delay_alu instid0(VALU_DEP_3) | instskip(NEXT) | instid1(VALU_DEP_3)
	v_fma_f32 v76, v60, v133, -v0
	v_dual_mul_f32 v0, v45, v130 :: v_dual_fmac_f32 v129, v60, v132
	s_delay_alu instid0(VALU_DEP_3) | instskip(NEXT) | instid1(VALU_DEP_2)
	v_fmac_f32_e32 v77, v44, v130
	v_fma_f32 v130, v44, v131, -v0
	ds_load_2addr_b64 v[131:134], v68 offset0:122 offset1:173
	v_add_nc_u32_e32 v44, 0x2800, v244
	s_waitcnt lgkmcnt(0)
	v_mul_f32_e32 v0, v47, v133
	v_mul_f32_e32 v69, v47, v134
	;; [unrolled: 1-line block ×3, first 2 shown]
	s_delay_alu instid0(VALU_DEP_3) | instskip(NEXT) | instid1(VALU_DEP_3)
	v_fma_f32 v70, v46, v134, -v0
	v_dual_mul_f32 v0, v39, v131 :: v_dual_fmac_f32 v69, v46, v133
	s_delay_alu instid0(VALU_DEP_3) | instskip(NEXT) | instid1(VALU_DEP_2)
	v_fmac_f32_e32 v71, v38, v131
	v_fma_f32 v131, v38, v132, -v0
	ds_load_2addr_b64 v[132:135], v62 offset0:150 offset1:201
	s_waitcnt lgkmcnt(0)
	v_mul_f32_e32 v0, v37, v134
	v_mul_f32_e32 v63, v37, v135
	;; [unrolled: 1-line block ×3, first 2 shown]
	s_delay_alu instid0(VALU_DEP_3) | instskip(NEXT) | instid1(VALU_DEP_3)
	v_fma_f32 v60, v36, v135, -v0
	v_dual_fmac_f32 v63, v36, v134 :: v_dual_mul_f32 v0, v25, v132
	s_delay_alu instid0(VALU_DEP_3) | instskip(NEXT) | instid1(VALU_DEP_2)
	v_fmac_f32_e32 v61, v24, v132
	v_fma_f32 v132, v24, v133, -v0
	ds_load_2addr_b64 v[133:136], v44 offset0:148 offset1:199
	s_waitcnt lgkmcnt(0)
	v_mul_f32_e32 v0, v27, v135
	v_mul_f32_e32 v47, v23, v134
	ds_load_2addr_b64 v[36:39], v44 offset0:46 offset1:97
	v_mul_f32_e32 v45, v27, v136
	v_fma_f32 v46, v26, v136, -v0
	v_fmac_f32_e32 v47, v22, v133
	s_delay_alu instid0(VALU_DEP_3) | instskip(SKIP_2) | instid1(VALU_DEP_1)
	v_fmac_f32_e32 v45, v26, v135
	s_waitcnt lgkmcnt(0)
	v_mul_f32_e32 v143, v15, v37
	v_dual_mul_f32 v0, v23, v133 :: v_dual_fmac_f32 v143, v14, v36
	s_delay_alu instid0(VALU_DEP_1)
	v_fma_f32 v137, v22, v134, -v0
	ds_load_2addr_b64 v[133:136], v62 offset0:48 offset1:99
	v_add_nc_u32_e32 v22, 0x1000, v244
	ds_load_2addr_b64 v[23:26], v22 offset0:202 offset1:253
	s_waitcnt lgkmcnt(1)
	v_mul_f32_e32 v140, v17, v134
	v_mul_f32_e32 v138, v21, v136
	s_waitcnt lgkmcnt(0)
	s_delay_alu instid0(VALU_DEP_2) | instskip(SKIP_1) | instid1(VALU_DEP_3)
	v_dual_fmac_f32 v140, v16, v133 :: v_dual_mul_f32 v145, v13, v26
	v_mul_f32_e32 v0, v21, v135
	v_fmac_f32_e32 v138, v20, v135
	s_delay_alu instid0(VALU_DEP_3) | instskip(NEXT) | instid1(VALU_DEP_3)
	v_fmac_f32_e32 v145, v12, v25
	v_fma_f32 v139, v20, v136, -v0
	v_mul_f32_e32 v0, v17, v133
	s_delay_alu instid0(VALU_DEP_1) | instskip(SKIP_2) | instid1(VALU_DEP_2)
	v_fma_f32 v141, v16, v134, -v0
	v_mul_f32_e32 v0, v19, v38
	v_add_nc_u32_e32 v16, 0x2000, v244
	v_fma_f32 v27, v18, v39, -v0
	v_mul_f32_e32 v0, v15, v36
	v_add_nc_u32_e32 v6, 0xc00, v244
	s_delay_alu instid0(VALU_DEP_2) | instskip(SKIP_1) | instid1(VALU_DEP_1)
	v_fma_f32 v144, v14, v37, -v0
	v_mul_f32_e32 v0, v13, v25
	v_fma_f32 v21, v12, v26, -v0
	ds_load_2addr_b64 v[12:15], v16 offset0:98 offset1:149
	v_mul_f32_e32 v142, v19, v39
	s_delay_alu instid0(VALU_DEP_1) | instskip(SKIP_4) | instid1(VALU_DEP_2)
	v_fmac_f32_e32 v142, v18, v38
	ds_load_2addr_b64 v[17:20], v22 offset0:100 offset1:151
	s_waitcnt vmcnt(0)
	v_mul_f32_e32 v146, v2, v24
	v_mul_f32_e32 v0, v2, v23
	v_fmac_f32_e32 v146, v1, v23
	s_delay_alu instid0(VALU_DEP_2) | instskip(SKIP_4) | instid1(VALU_DEP_2)
	v_fma_f32 v147, v1, v24, -v0
	ds_load_2addr_b64 v[23:26], v16 offset0:200 offset1:251
	s_waitcnt lgkmcnt(0)
	v_mul_f32_e32 v148, v4, v26
	v_mul_f32_e32 v0, v4, v25
	v_fmac_f32_e32 v148, v3, v25
	s_delay_alu instid0(VALU_DEP_2) | instskip(SKIP_4) | instid1(VALU_DEP_2)
	v_fma_f32 v149, v3, v26, -v0
	scratch_load_b128 v[1:4], off, off offset:180 ; 16-byte Folded Reload
	s_waitcnt vmcnt(0)
	v_mul_f32_e32 v150, v4, v24
	v_mul_f32_e32 v0, v4, v23
	v_fmac_f32_e32 v150, v3, v23
	s_delay_alu instid0(VALU_DEP_2) | instskip(SKIP_4) | instid1(VALU_DEP_1)
	v_fma_f32 v151, v3, v24, -v0
	v_mul_f32_e32 v0, v2, v19
	scratch_load_b128 v[23:26], off, off offset:148 ; 16-byte Folded Reload
	v_fma_f32 v153, v1, v20, -v0
	v_mul_f32_e32 v152, v2, v20
	v_fmac_f32_e32 v152, v1, v19
	scratch_load_b128 v[1:4], off, off offset:164 ; 16-byte Folded Reload
	s_waitcnt vmcnt(1)
	v_mul_f32_e32 v7, v26, v13
	s_waitcnt vmcnt(0)
	s_delay_alu instid0(VALU_DEP_1) | instskip(SKIP_2) | instid1(VALU_DEP_3)
	v_dual_fmac_f32 v7, v25, v12 :: v_dual_mul_f32 v0, v2, v17
	v_mul_f32_e32 v156, v4, v15
	v_mul_f32_e32 v154, v2, v18
	v_fma_f32 v155, v1, v18, -v0
	v_mul_f32_e32 v0, v4, v14
	s_delay_alu instid0(VALU_DEP_4) | instskip(NEXT) | instid1(VALU_DEP_4)
	v_fmac_f32_e32 v156, v3, v14
	v_fmac_f32_e32 v154, v1, v17
	s_delay_alu instid0(VALU_DEP_3) | instskip(SKIP_2) | instid1(VALU_DEP_1)
	v_fma_f32 v157, v3, v15, -v0
	ds_load_2addr_b64 v[2:5], v6 offset0:126 offset1:177
	v_mul_f32_e32 v0, v26, v12
	v_fma_f32 v0, v25, v13, -v0
	ds_load_2addr_b64 v[12:15], v244 offset1:51
	s_waitcnt lgkmcnt(1)
	v_mul_f32_e32 v1, v24, v4
	v_mul_f32_e32 v17, v24, v5
	s_delay_alu instid0(VALU_DEP_2) | instskip(SKIP_1) | instid1(VALU_DEP_1)
	v_fma_f32 v1, v23, v5, -v1
	s_waitcnt lgkmcnt(0)
	v_dual_fmac_f32 v17, v23, v4 :: v_dual_add_f32 v4, v13, v1
	v_add_f32_e32 v5, v1, v0
	v_sub_f32_e32 v158, v1, v0
	s_delay_alu instid0(VALU_DEP_3) | instskip(NEXT) | instid1(VALU_DEP_4)
	v_sub_f32_e32 v159, v17, v7
	v_add_f32_e32 v1, v4, v0
	v_add_f32_e32 v0, v12, v17
	;; [unrolled: 1-line block ×3, first 2 shown]
	v_fma_f32 v5, -0.5, v5, v13
	s_delay_alu instid0(VALU_DEP_3)
	v_dual_add_f32 v0, v0, v7 :: v_dual_add_nc_u32 v7, 0x800, v244
	ds_load_2addr_b64 v[17:20], v244 offset0:102 offset1:153
	ds_load_2addr_b64 v[23:26], v244 offset0:204 offset1:255
	;; [unrolled: 1-line block ×4, first 2 shown]
	s_waitcnt lgkmcnt(0)
	s_barrier
	buffer_gl0_inv
	scratch_load_b32 v40, off, off offset:212 ; 4-byte Folded Reload
	v_fma_f32 v4, -0.5, v4, v12
	v_fmamk_f32 v13, v159, 0x3f5db3d7, v5
	s_delay_alu instid0(VALU_DEP_2)
	v_dual_fmac_f32 v5, 0xbf5db3d7, v159 :: v_dual_fmamk_f32 v12, v158, 0xbf5db3d7, v4
	v_fmac_f32_e32 v4, 0x3f5db3d7, v158
	s_waitcnt vmcnt(0)
	ds_store_2addr_b64 v40, v[0:1], v[12:13] offset1:17
	ds_store_b64 v40, v[4:5] offset:272
	scratch_load_b32 v40, off, off offset:216 ; 4-byte Folded Reload
	v_dual_add_f32 v0, v154, v156 :: v_dual_add_f32 v5, v155, v157
	v_add_f32_e32 v4, v14, v154
	v_dual_sub_f32 v12, v155, v157 :: v_dual_sub_f32 v13, v154, v156
	s_delay_alu instid0(VALU_DEP_3) | instskip(NEXT) | instid1(VALU_DEP_4)
	v_fma_f32 v14, -0.5, v0, v14
	v_dual_add_f32 v0, v15, v155 :: v_dual_fmac_f32 v15, -0.5, v5
	s_delay_alu instid0(VALU_DEP_1) | instskip(SKIP_1) | instid1(VALU_DEP_4)
	v_add_f32_e32 v1, v0, v157
	v_add_f32_e32 v0, v4, v156
	v_fmamk_f32 v4, v12, 0xbf5db3d7, v14
	s_delay_alu instid0(VALU_DEP_4)
	v_dual_fmamk_f32 v5, v13, 0x3f5db3d7, v15 :: v_dual_fmac_f32 v14, 0x3f5db3d7, v12
	v_fmac_f32_e32 v15, 0xbf5db3d7, v13
	s_waitcnt vmcnt(0)
	ds_store_2addr_b64 v40, v[0:1], v[4:5] offset1:17
	v_add_f32_e32 v5, v153, v151
	ds_store_b64 v40, v[14:15] offset:272
	v_dual_sub_f32 v15, v152, v150 :: v_dual_add_f32 v0, v18, v153
	v_sub_f32_e32 v14, v153, v151
	v_fma_f32 v5, -0.5, v5, v18
	s_delay_alu instid0(VALU_DEP_3) | instskip(NEXT) | instid1(VALU_DEP_2)
	v_add_f32_e32 v1, v0, v151
	v_dual_fmamk_f32 v13, v15, 0x3f5db3d7, v5 :: v_dual_add_f32 v4, v152, v150
	v_dual_add_f32 v0, v17, v152 :: v_dual_fmac_f32 v5, 0xbf5db3d7, v15
	v_sub_f32_e32 v15, v145, v143
	s_delay_alu instid0(VALU_DEP_3)
	v_fma_f32 v4, -0.5, v4, v17
	scratch_load_b32 v17, off, off offset:220 ; 4-byte Folded Reload
	v_add_f32_e32 v0, v0, v150
	v_fmamk_f32 v12, v14, 0xbf5db3d7, v4
	v_fmac_f32_e32 v4, 0x3f5db3d7, v14
	scratch_load_b32 v14, off, off offset:224 ; 4-byte Folded Reload
	s_waitcnt vmcnt(1)
	ds_store_2addr_b64 v17, v[0:1], v[12:13] offset1:17
	ds_store_b64 v17, v[4:5] offset:272
	v_dual_add_f32 v0, v146, v148 :: v_dual_add_f32 v5, v147, v149
	v_add_f32_e32 v4, v19, v146
	v_dual_sub_f32 v12, v147, v149 :: v_dual_sub_f32 v13, v146, v148
	s_delay_alu instid0(VALU_DEP_3)
	v_fma_f32 v19, -0.5, v0, v19
	v_add_f32_e32 v0, v20, v147
	v_fmac_f32_e32 v20, -0.5, v5
	scratch_load_b32 v17, off, off offset:232 ; 4-byte Folded Reload
	v_add_f32_e32 v1, v0, v149
	v_add_f32_e32 v0, v4, v148
	v_fmamk_f32 v4, v12, 0xbf5db3d7, v19
	v_fmamk_f32 v5, v13, 0x3f5db3d7, v20
	v_fmac_f32_e32 v19, 0x3f5db3d7, v12
	v_fmac_f32_e32 v20, 0xbf5db3d7, v13
	s_waitcnt vmcnt(1)
	ds_store_2addr_b64 v14, v[0:1], v[4:5] offset1:17
	v_add_f32_e32 v4, v145, v143
	ds_store_b64 v14, v[19:20] offset:272
	v_sub_f32_e32 v14, v21, v144
	v_dual_add_f32 v0, v24, v21 :: v_dual_add_f32 v5, v21, v144
	v_fma_f32 v4, -0.5, v4, v23
	s_delay_alu instid0(VALU_DEP_2) | instskip(NEXT) | instid1(VALU_DEP_2)
	v_dual_add_f32 v1, v0, v144 :: v_dual_add_f32 v0, v23, v145
	v_fmamk_f32 v12, v14, 0xbf5db3d7, v4
	v_fmac_f32_e32 v4, 0x3f5db3d7, v14
	scratch_load_b32 v14, off, off offset:236 ; 4-byte Folded Reload
	v_fma_f32 v5, -0.5, v5, v24
	s_delay_alu instid0(VALU_DEP_1)
	v_dual_add_f32 v0, v0, v143 :: v_dual_fmamk_f32 v13, v15, 0x3f5db3d7, v5
	v_fmac_f32_e32 v5, 0xbf5db3d7, v15
	v_sub_f32_e32 v15, v138, v47
	s_waitcnt vmcnt(1)
	ds_store_2addr_b64 v17, v[0:1], v[12:13] offset1:17
	ds_store_b64 v17, v[4:5] offset:272
	v_dual_add_f32 v0, v140, v142 :: v_dual_add_f32 v5, v141, v27
	v_add_f32_e32 v4, v25, v140
	v_dual_sub_f32 v12, v141, v27 :: v_dual_sub_f32 v13, v140, v142
	s_delay_alu instid0(VALU_DEP_3)
	v_fma_f32 v25, -0.5, v0, v25
	v_add_f32_e32 v0, v26, v141
	v_fmac_f32_e32 v26, -0.5, v5
	scratch_load_b32 v17, off, off offset:240 ; 4-byte Folded Reload
	v_add_f32_e32 v1, v0, v27
	v_add_f32_e32 v0, v4, v142
	v_fmamk_f32 v4, v12, 0xbf5db3d7, v25
	v_fmamk_f32 v5, v13, 0x3f5db3d7, v26
	v_fmac_f32_e32 v25, 0x3f5db3d7, v12
	v_fmac_f32_e32 v26, 0xbf5db3d7, v13
	s_waitcnt vmcnt(1)
	ds_store_2addr_b64 v14, v[0:1], v[4:5] offset1:17
	v_add_f32_e32 v4, v138, v47
	ds_store_b64 v14, v[25:26] offset:272
	v_sub_f32_e32 v14, v139, v137
	v_dual_add_f32 v0, v37, v139 :: v_dual_add_f32 v5, v139, v137
	v_fma_f32 v4, -0.5, v4, v36
	s_delay_alu instid0(VALU_DEP_2) | instskip(SKIP_1) | instid1(VALU_DEP_3)
	v_add_f32_e32 v1, v0, v137
	v_add_f32_e32 v0, v36, v138
	v_fmamk_f32 v12, v14, 0xbf5db3d7, v4
	v_fmac_f32_e32 v4, 0x3f5db3d7, v14
	scratch_load_b32 v14, off, off offset:260 ; 4-byte Folded Reload
	v_fma_f32 v5, -0.5, v5, v37
	s_delay_alu instid0(VALU_DEP_1)
	v_dual_add_f32 v0, v0, v47 :: v_dual_fmamk_f32 v13, v15, 0x3f5db3d7, v5
	v_fmac_f32_e32 v5, 0xbf5db3d7, v15
	v_sub_f32_e32 v15, v63, v71
	s_waitcnt vmcnt(1)
	ds_store_2addr_b64 v17, v[0:1], v[12:13] offset1:17
	ds_store_b64 v17, v[4:5] offset:272
	v_dual_add_f32 v0, v61, v45 :: v_dual_add_f32 v5, v132, v46
	v_add_f32_e32 v4, v38, v61
	v_dual_sub_f32 v12, v132, v46 :: v_dual_sub_f32 v13, v61, v45
	s_delay_alu instid0(VALU_DEP_3) | instskip(NEXT) | instid1(VALU_DEP_4)
	v_fma_f32 v38, -0.5, v0, v38
	v_dual_add_f32 v0, v39, v132 :: v_dual_fmac_f32 v39, -0.5, v5
	scratch_load_b32 v17, off, off offset:268 ; 4-byte Folded Reload
	v_add_f32_e32 v1, v0, v46
	v_add_f32_e32 v0, v4, v45
	v_fmamk_f32 v4, v12, 0xbf5db3d7, v38
	v_dual_fmamk_f32 v5, v13, 0x3f5db3d7, v39 :: v_dual_fmac_f32 v38, 0x3f5db3d7, v12
	v_fmac_f32_e32 v39, 0xbf5db3d7, v13
	s_waitcnt vmcnt(1)
	ds_store_2addr_b64 v14, v[0:1], v[4:5] offset1:17
	v_add_f32_e32 v4, v63, v71
	ds_store_b64 v14, v[38:39] offset:272
	v_sub_f32_e32 v14, v60, v131
	v_dual_add_f32 v0, v134, v60 :: v_dual_add_f32 v5, v60, v131
	v_fma_f32 v4, -0.5, v4, v133
	s_delay_alu instid0(VALU_DEP_2) | instskip(SKIP_1) | instid1(VALU_DEP_3)
	v_add_f32_e32 v1, v0, v131
	v_add_f32_e32 v0, v133, v63
	v_fmamk_f32 v12, v14, 0xbf5db3d7, v4
	v_fmac_f32_e32 v4, 0x3f5db3d7, v14
	scratch_load_b32 v14, off, off offset:264 ; 4-byte Folded Reload
	v_fma_f32 v5, -0.5, v5, v134
	s_delay_alu instid0(VALU_DEP_1)
	v_dual_add_f32 v0, v0, v71 :: v_dual_fmamk_f32 v13, v15, 0x3f5db3d7, v5
	v_fmac_f32_e32 v5, 0xbf5db3d7, v15
	s_waitcnt vmcnt(1)
	ds_store_2addr_b64 v17, v[0:1], v[12:13] offset1:17
	ds_store_b64 v17, v[4:5] offset:272
	v_dual_add_f32 v0, v77, v69 :: v_dual_add_f32 v5, v130, v70
	v_add_f32_e32 v4, v135, v77
	v_dual_sub_f32 v12, v130, v70 :: v_dual_sub_f32 v13, v77, v69
	s_delay_alu instid0(VALU_DEP_3) | instskip(SKIP_1) | instid1(VALU_DEP_1)
	v_fma_f32 v135, -0.5, v0, v135
	v_add_f32_e32 v0, v136, v130
	v_dual_fmac_f32 v136, -0.5, v5 :: v_dual_add_f32 v1, v0, v70
	v_add_f32_e32 v0, v4, v69
	s_delay_alu instid0(VALU_DEP_4) | instskip(NEXT) | instid1(VALU_DEP_3)
	v_fmamk_f32 v4, v12, 0xbf5db3d7, v135
	v_fmamk_f32 v5, v13, 0x3f5db3d7, v136
	v_fmac_f32_e32 v135, 0x3f5db3d7, v12
	v_fmac_f32_e32 v136, 0xbf5db3d7, v13
	v_dual_sub_f32 v12, v76, v79 :: v_dual_sub_f32 v13, v129, v128
	s_waitcnt vmcnt(0)
	ds_store_2addr_b64 v14, v[0:1], v[4:5] offset1:17
	ds_store_b64 v14, v[135:136] offset:272
	scratch_load_b32 v14, off, off offset:272 ; 4-byte Folded Reload
	v_add_f32_e32 v0, v129, v128
	v_dual_add_f32 v4, v2, v129 :: v_dual_add_f32 v1, v3, v76
	s_delay_alu instid0(VALU_DEP_2) | instskip(SKIP_1) | instid1(VALU_DEP_3)
	v_fma_f32 v2, -0.5, v0, v2
	v_add_f32_e32 v0, v76, v79
	v_add_f32_e32 v1, v1, v79
	s_delay_alu instid0(VALU_DEP_2) | instskip(SKIP_2) | instid1(VALU_DEP_3)
	v_fmac_f32_e32 v3, -0.5, v0
	v_add_f32_e32 v0, v4, v128
	v_fmamk_f32 v4, v12, 0xbf5db3d7, v2
	v_dual_fmac_f32 v2, 0x3f5db3d7, v12 :: v_dual_fmamk_f32 v5, v13, 0x3f5db3d7, v3
	v_fmac_f32_e32 v3, 0xbf5db3d7, v13
	s_waitcnt vmcnt(0)
	ds_store_2addr_b64 v14, v[0:1], v[4:5] offset1:17
	ds_store_b64 v14, v[2:3] offset:272
	s_waitcnt lgkmcnt(0)
	s_barrier
	buffer_gl0_inv
	ds_load_b64 v[0:1], v244 offset:13056
	ds_load_2addr_b64 v[150:153], v244 offset1:51
	s_clause 0x1
	scratch_load_b128 v[40:43], off, off offset:244
	scratch_load_b128 v[8:11], off, off offset:276
	s_waitcnt lgkmcnt(1)
	v_mul_f32_e32 v12, v91, v1
	s_delay_alu instid0(VALU_DEP_1) | instskip(SKIP_1) | instid1(VALU_DEP_1)
	v_fmac_f32_e32 v12, v90, v0
	v_mul_f32_e32 v0, v91, v0
	v_fma_f32 v17, v90, v1, -v0
	ds_load_2addr_b64 v[0:3], v44 offset0:148 offset1:199
	s_waitcnt lgkmcnt(0)
	v_mul_f32_e32 v13, v89, v3
	s_delay_alu instid0(VALU_DEP_1) | instskip(SKIP_1) | instid1(VALU_DEP_2)
	v_dual_mul_f32 v36, v65, v1 :: v_dual_fmac_f32 v13, v88, v2
	v_mul_f32_e32 v2, v89, v2
	v_fmac_f32_e32 v36, v64, v0
	v_mul_f32_e32 v0, v65, v0
	s_delay_alu instid0(VALU_DEP_3) | instskip(NEXT) | instid1(VALU_DEP_2)
	v_fma_f32 v15, v88, v3, -v2
	v_fma_f32 v37, v64, v1, -v0
	ds_load_2addr_b64 v[0:3], v68 offset0:122 offset1:173
	s_waitcnt lgkmcnt(0)
	v_mul_f32_e32 v4, v67, v1
	s_delay_alu instid0(VALU_DEP_1) | instskip(NEXT) | instid1(VALU_DEP_1)
	v_dual_mul_f32 v45, v67, v3 :: v_dual_fmac_f32 v4, v66, v0
	v_dual_mul_f32 v0, v67, v0 :: v_dual_fmac_f32 v45, v66, v2
	s_delay_alu instid0(VALU_DEP_1) | instskip(SKIP_1) | instid1(VALU_DEP_1)
	v_fma_f32 v5, v66, v1, -v0
	v_mul_f32_e32 v0, v67, v2
	v_fma_f32 v46, v66, v3, -v0
	ds_load_2addr_b64 v[0:3], v44 offset0:46 offset1:97
	s_waitcnt lgkmcnt(0)
	v_mul_f32_e32 v89, v65, v3
	v_mul_f32_e32 v19, v83, v1
	s_delay_alu instid0(VALU_DEP_2) | instskip(NEXT) | instid1(VALU_DEP_2)
	v_fmac_f32_e32 v89, v64, v2
	v_dual_mul_f32 v2, v65, v2 :: v_dual_fmac_f32 v19, v82, v0
	v_mul_f32_e32 v0, v83, v0
	s_delay_alu instid0(VALU_DEP_2) | instskip(NEXT) | instid1(VALU_DEP_2)
	v_fma_f32 v88, v64, v3, -v2
	v_fma_f32 v20, v82, v1, -v0
	ds_load_2addr_b64 v[0:3], v16 offset0:98 offset1:149
	s_waitcnt lgkmcnt(0)
	v_mul_f32_e32 v14, v81, v3
	v_mul_f32_e32 v38, v53, v1
	s_delay_alu instid0(VALU_DEP_2) | instskip(SKIP_1) | instid1(VALU_DEP_3)
	v_fmac_f32_e32 v14, v80, v2
	v_mul_f32_e32 v2, v81, v2
	v_fmac_f32_e32 v38, v52, v0
	v_mul_f32_e32 v0, v53, v0
	s_delay_alu instid0(VALU_DEP_3) | instskip(NEXT) | instid1(VALU_DEP_2)
	v_fma_f32 v18, v80, v3, -v2
	v_fma_f32 v39, v52, v1, -v0
	ds_load_2addr_b64 v[0:3], v16 offset0:200 offset1:251
	s_waitcnt lgkmcnt(0)
	v_mul_f32_e32 v129, v55, v1
	s_delay_alu instid0(VALU_DEP_1) | instskip(SKIP_1) | instid1(VALU_DEP_2)
	v_dual_mul_f32 v60, v55, v3 :: v_dual_fmac_f32 v129, v54, v0
	v_mul_f32_e32 v0, v55, v0
	v_fmac_f32_e32 v60, v54, v2
	s_delay_alu instid0(VALU_DEP_2) | instskip(SKIP_1) | instid1(VALU_DEP_1)
	v_fma_f32 v128, v54, v1, -v0
	v_mul_f32_e32 v0, v55, v2
	v_fma_f32 v54, v54, v3, -v0
	ds_load_2addr_b64 v[0:3], v78 offset0:124 offset1:175
	s_waitcnt lgkmcnt(0)
	v_mul_f32_e32 v135, v53, v3
	v_mul_f32_e32 v21, v75, v1
	s_delay_alu instid0(VALU_DEP_2) | instskip(NEXT) | instid1(VALU_DEP_2)
	v_fmac_f32_e32 v135, v52, v2
	v_dual_mul_f32 v2, v53, v2 :: v_dual_fmac_f32 v21, v74, v0
	v_mul_f32_e32 v0, v75, v0
	s_delay_alu instid0(VALU_DEP_2) | instskip(NEXT) | instid1(VALU_DEP_2)
	v_fma_f32 v134, v52, v3, -v2
	v_fma_f32 v24, v74, v1, -v0
	ds_load_2addr_b64 v[0:3], v62 offset0:48 offset1:99
	s_waitcnt lgkmcnt(0)
	v_mul_f32_e32 v23, v73, v3
	v_mul_f32_e32 v47, v33, v1
	s_delay_alu instid0(VALU_DEP_2) | instskip(NEXT) | instid1(VALU_DEP_2)
	v_fmac_f32_e32 v23, v72, v2
	v_dual_mul_f32 v2, v73, v2 :: v_dual_fmac_f32 v47, v32, v0
	v_mul_f32_e32 v0, v33, v0
	s_delay_alu instid0(VALU_DEP_2) | instskip(NEXT) | instid1(VALU_DEP_2)
	v_fma_f32 v25, v72, v3, -v2
	v_fma_f32 v52, v32, v1, -v0
	ds_load_2addr_b64 v[0:3], v62 offset0:150 offset1:201
	s_waitcnt lgkmcnt(0)
	v_mul_f32_e32 v139, v35, v1
	v_mul_f32_e32 v53, v35, v3
	s_delay_alu instid0(VALU_DEP_2) | instskip(NEXT) | instid1(VALU_DEP_2)
	v_fmac_f32_e32 v139, v34, v0
	v_dual_mul_f32 v0, v35, v0 :: v_dual_fmac_f32 v53, v34, v2
	s_delay_alu instid0(VALU_DEP_1) | instskip(SKIP_1) | instid1(VALU_DEP_1)
	v_fma_f32 v138, v34, v1, -v0
	v_mul_f32_e32 v0, v35, v2
	v_fma_f32 v34, v34, v3, -v0
	ds_load_2addr_b64 v[0:3], v22 offset0:202 offset1:253
	s_waitcnt lgkmcnt(0)
	v_mul_f32_e32 v142, v33, v3
	v_mul_f32_e32 v26, v59, v1
	s_delay_alu instid0(VALU_DEP_2) | instskip(SKIP_1) | instid1(VALU_DEP_3)
	v_fmac_f32_e32 v142, v32, v2
	v_mul_f32_e32 v2, v33, v2
	v_fmac_f32_e32 v26, v58, v0
	v_mul_f32_e32 v0, v59, v0
	s_delay_alu instid0(VALU_DEP_3) | instskip(NEXT) | instid1(VALU_DEP_2)
	v_fma_f32 v143, v32, v3, -v2
	v_fma_f32 v27, v58, v1, -v0
	ds_load_2addr_b64 v[0:3], v6 offset0:126 offset1:177
	s_waitcnt lgkmcnt(0)
	v_mul_f32_e32 v32, v57, v3
	s_delay_alu instid0(VALU_DEP_1) | instskip(NEXT) | instid1(VALU_DEP_1)
	v_dual_mul_f32 v55, v29, v1 :: v_dual_fmac_f32 v32, v56, v2
	v_dual_mul_f32 v2, v57, v2 :: v_dual_fmac_f32 v55, v28, v0
	v_mul_f32_e32 v0, v29, v0
	s_delay_alu instid0(VALU_DEP_2) | instskip(NEXT) | instid1(VALU_DEP_2)
	v_fma_f32 v33, v56, v3, -v2
	v_fma_f32 v57, v28, v1, -v0
	ds_load_2addr_b64 v[0:3], v22 offset0:100 offset1:151
	s_waitcnt lgkmcnt(0)
	v_mul_f32_e32 v136, v31, v1
	s_delay_alu instid0(VALU_DEP_1) | instskip(NEXT) | instid1(VALU_DEP_1)
	v_dual_mul_f32 v35, v31, v3 :: v_dual_fmac_f32 v136, v30, v0
	v_dual_mul_f32 v0, v31, v0 :: v_dual_fmac_f32 v35, v30, v2
	s_delay_alu instid0(VALU_DEP_1) | instskip(SKIP_1) | instid1(VALU_DEP_1)
	v_fma_f32 v137, v30, v1, -v0
	v_mul_f32_e32 v0, v31, v2
	v_fma_f32 v56, v30, v3, -v0
	ds_load_2addr_b64 v[0:3], v7 offset0:152 offset1:203
	s_waitcnt lgkmcnt(0)
	v_mul_f32_e32 v132, v29, v3
	s_delay_alu instid0(VALU_DEP_1) | instskip(SKIP_1) | instid1(VALU_DEP_1)
	v_fmac_f32_e32 v132, v28, v2
	v_mul_f32_e32 v2, v29, v2
	v_fma_f32 v133, v28, v3, -v2
	s_waitcnt vmcnt(1)
	v_mul_f32_e32 v28, v43, v1
	s_delay_alu instid0(VALU_DEP_1) | instskip(SKIP_1) | instid1(VALU_DEP_1)
	v_fmac_f32_e32 v28, v42, v0
	v_mul_f32_e32 v0, v43, v0
	v_fma_f32 v29, v42, v1, -v0
	ds_load_2addr_b64 v[0:3], v244 offset0:204 offset1:255
	s_waitcnt lgkmcnt(0)
	v_mul_f32_e32 v30, v41, v3
	s_delay_alu instid0(VALU_DEP_1) | instskip(SKIP_3) | instid1(VALU_DEP_2)
	v_fmac_f32_e32 v30, v40, v2
	v_mul_f32_e32 v2, v41, v2
	s_waitcnt vmcnt(0)
	v_mul_f32_e32 v41, v9, v1
	v_fma_f32 v31, v40, v3, -v2
	s_delay_alu instid0(VALU_DEP_2) | instskip(SKIP_1) | instid1(VALU_DEP_2)
	v_fmac_f32_e32 v41, v8, v0
	v_mul_f32_e32 v0, v9, v0
	v_add_f32_e32 v79, v41, v45
	s_delay_alu instid0(VALU_DEP_2) | instskip(SKIP_4) | instid1(VALU_DEP_2)
	v_fma_f32 v42, v8, v1, -v0
	ds_load_2addr_b64 v[0:3], v7 offset0:50 offset1:101
	s_waitcnt lgkmcnt(0)
	v_mul_f32_e32 v90, v11, v1
	v_mul_f32_e32 v40, v11, v3
	v_fmac_f32_e32 v90, v10, v0
	v_mul_f32_e32 v0, v11, v0
	s_delay_alu instid0(VALU_DEP_3) | instskip(NEXT) | instid1(VALU_DEP_2)
	v_fmac_f32_e32 v40, v10, v2
	v_fma_f32 v91, v10, v1, -v0
	v_mul_f32_e32 v0, v11, v2
	s_delay_alu instid0(VALU_DEP_1)
	v_fma_f32 v10, v10, v3, -v0
	ds_load_2addr_b64 v[0:3], v244 offset0:102 offset1:153
	s_waitcnt lgkmcnt(0)
	s_barrier
	buffer_gl0_inv
	v_mul_f32_e32 v11, v9, v2
	s_delay_alu instid0(VALU_DEP_1) | instskip(NEXT) | instid1(VALU_DEP_1)
	v_fma_f32 v11, v8, v3, -v11
	v_dual_mul_f32 v3, v9, v3 :: v_dual_sub_f32 v58, v11, v5
	s_delay_alu instid0(VALU_DEP_1) | instskip(NEXT) | instid1(VALU_DEP_1)
	v_fmac_f32_e32 v3, v8, v2
	v_dual_mul_f32 v8, 0xbf0a6770, v58 :: v_dual_add_f32 v65, v3, v4
	v_mul_f32_e32 v43, 0xbf68dda4, v58
	v_mul_f32_e32 v59, 0xbf7d64f0, v58
	;; [unrolled: 1-line block ×4, first 2 shown]
	v_fmamk_f32 v2, v65, 0x3f575c64, v8
	v_fma_f32 v8, 0x3f575c64, v65, -v8
	v_fmamk_f32 v9, v65, 0x3ed4b147, v43
	v_fma_f32 v43, 0x3ed4b147, v65, -v43
	;; [unrolled: 2-line block ×5, first 2 shown]
	v_add_f32_e32 v66, v11, v5
	v_dual_sub_f32 v76, v3, v4 :: v_dual_add_f32 v3, v150, v3
	v_add_f32_e32 v177, v150, v2
	v_add_f32_e32 v159, v150, v9
	s_delay_alu instid0(VALU_DEP_4)
	v_mul_f32_e32 v69, 0xbe11bafb, v66
	v_mul_f32_e32 v70, 0x3ed4b147, v66
	;; [unrolled: 1-line block ×3, first 2 shown]
	v_add_f32_e32 v83, v150, v43
	v_add_f32_e32 v149, v150, v61
	v_fmamk_f32 v77, v76, 0x3f7d64f0, v69
	v_fmac_f32_e32 v69, 0xbf7d64f0, v76
	v_fmamk_f32 v73, v76, 0x3f4178ce, v67
	v_fmac_f32_e32 v67, 0xbf4178ce, v76
	s_delay_alu instid0(VALU_DEP_4) | instskip(SKIP_3) | instid1(VALU_DEP_3)
	v_dual_add_f32 v147, v150, v58 :: v_dual_add_f32 v148, v151, v77
	v_fmamk_f32 v74, v76, 0x3f68dda4, v70
	v_dual_fmac_f32 v70, 0xbf68dda4, v76 :: v_dual_add_f32 v141, v150, v63
	v_add_f32_e32 v145, v150, v64
	v_dual_add_f32 v131, v150, v65 :: v_dual_add_f32 v156, v151, v74
	v_mul_f32_e32 v72, 0x3f575c64, v66
	v_mul_f32_e32 v66, 0xbf75a155, v66
	v_add_f32_e32 v82, v151, v70
	v_dual_add_f32 v140, v151, v67 :: v_dual_add_f32 v77, v152, v41
	s_delay_alu instid0(VALU_DEP_4)
	v_fmamk_f32 v75, v76, 0x3f0a6770, v72
	v_fmac_f32_e32 v72, 0xbf0a6770, v76
	v_fmamk_f32 v71, v76, 0x3e903f40, v66
	v_fmac_f32_e32 v66, 0xbe903f40, v76
	v_sub_f32_e32 v76, v42, v46
	v_dual_add_f32 v178, v151, v75 :: v_dual_add_f32 v75, v150, v8
	s_delay_alu instid0(VALU_DEP_4) | instskip(NEXT) | instid1(VALU_DEP_4)
	v_add_f32_e32 v144, v151, v71
	v_add_f32_e32 v130, v151, v66
	s_delay_alu instid0(VALU_DEP_4) | instskip(SKIP_1) | instid1(VALU_DEP_2)
	v_mul_f32_e32 v80, 0xbf0a6770, v76
	v_mul_f32_e32 v81, 0xbf4178ce, v76
	v_fmamk_f32 v154, v79, 0x3f575c64, v80
	v_fma_f32 v155, 0x3f575c64, v79, -v80
	v_mul_f32_e32 v80, 0xbf68dda4, v76
	s_delay_alu instid0(VALU_DEP_4) | instskip(SKIP_2) | instid1(VALU_DEP_4)
	v_fmamk_f32 v162, v79, 0xbf27a4f4, v81
	v_fma_f32 v163, 0xbf27a4f4, v79, -v81
	v_dual_add_f32 v81, v150, v59 :: v_dual_add_f32 v150, v91, v88
	v_fmamk_f32 v157, v79, 0x3ed4b147, v80
	v_fma_f32 v158, 0x3ed4b147, v79, -v80
	v_mul_f32_e32 v80, 0xbf7d64f0, v76
	v_add_f32_e32 v146, v151, v73
	v_mul_f32_e32 v76, 0xbe903f40, v76
	v_add_f32_e32 v74, v152, v154
	v_add_f32_e32 v8, v152, v158
	v_fmamk_f32 v160, v79, 0xbe11bafb, v80
	v_fma_f32 v161, 0xbe11bafb, v79, -v80
	v_fmamk_f32 v164, v79, 0xbf75a155, v76
	v_fma_f32 v165, 0xbf75a155, v79, -v76
	v_dual_add_f32 v76, v42, v46 :: v_dual_sub_f32 v79, v41, v45
	v_add_f32_e32 v41, v152, v155
	v_add_f32_e32 v70, v152, v160
	s_delay_alu instid0(VALU_DEP_3)
	v_dual_add_f32 v59, v152, v161 :: v_dual_mul_f32 v166, 0x3f575c64, v76
	v_mul_f32_e32 v168, 0x3ed4b147, v76
	v_mul_f32_e32 v170, 0xbe11bafb, v76
	;; [unrolled: 1-line block ×4, first 2 shown]
	v_add_f32_e32 v76, v151, v72
	v_add_f32_e32 v72, v152, v157
	v_add_f32_e32 v67, v152, v162
	v_add_f32_e32 v43, v152, v163
	v_add_f32_e32 v65, v152, v164
	v_dual_add_f32 v63, v152, v165 :: v_dual_add_f32 v152, v133, v128
	v_dual_add_f32 v176, v151, v11 :: v_dual_sub_f32 v155, v137, v134
	v_add_f32_e32 v2, v3, v90
	v_fmamk_f32 v169, v79, 0x3f68dda4, v168
	v_fmac_f32_e32 v168, 0xbf68dda4, v79
	s_delay_alu instid0(VALU_DEP_4) | instskip(SKIP_2) | instid1(VALU_DEP_4)
	v_add_f32_e32 v3, v176, v91
	v_fmamk_f32 v167, v79, 0x3f0a6770, v166
	v_fmamk_f32 v173, v79, 0x3f7d64f0, v170
	v_dual_fmamk_f32 v174, v79, 0x3f4178ce, v171 :: v_dual_add_f32 v9, v153, v168
	s_delay_alu instid0(VALU_DEP_4)
	v_add_f32_e32 v3, v3, v133
	v_fmac_f32_e32 v171, 0xbf4178ce, v79
	v_fmamk_f32 v175, v79, 0x3e903f40, v172
	v_fmac_f32_e32 v172, 0xbe903f40, v79
	v_add_f32_e32 v80, v151, v69
	v_add_f32_e32 v3, v3, v137
	v_sub_f32_e32 v151, v91, v88
	v_add_f32_e32 v73, v153, v167
	v_add_f32_e32 v71, v153, v169
	;; [unrolled: 1-line block ×3, first 2 shown]
	v_dual_add_f32 v3, v3, v143 :: v_dual_add_f32 v66, v153, v174
	v_add_f32_e32 v61, v153, v172
	v_mul_f32_e32 v173, 0x3f575c64, v152
	v_mul_f32_e32 v91, 0x3ed4b147, v150
	s_delay_alu instid0(VALU_DEP_4) | instskip(SKIP_2) | instid1(VALU_DEP_3)
	v_add_f32_e32 v3, v3, v138
	v_dual_sub_f32 v158, v143, v138 :: v_dual_mul_f32 v161, 0xbf75a155, v152
	v_mul_f32_e32 v162, 0x3f7d64f0, v155
	v_dual_mul_f32 v174, 0xbe903f40, v155 :: v_dual_add_f32 v3, v3, v134
	s_delay_alu instid0(VALU_DEP_3) | instskip(NEXT) | instid1(VALU_DEP_2)
	v_mul_f32_e32 v164, 0x3f0a6770, v158
	v_dual_mul_f32 v176, 0x3f68dda4, v158 :: v_dual_add_f32 v3, v3, v128
	v_add_f32_e32 v2, v2, v132
	s_delay_alu instid0(VALU_DEP_2) | instskip(NEXT) | instid1(VALU_DEP_2)
	v_add_f32_e32 v3, v3, v88
	v_add_f32_e32 v2, v2, v136
	;; [unrolled: 1-line block ×3, first 2 shown]
	s_delay_alu instid0(VALU_DEP_2) | instskip(NEXT) | instid1(VALU_DEP_1)
	v_dual_add_f32 v3, v3, v5 :: v_dual_add_f32 v2, v2, v142
	v_add_f32_e32 v2, v2, v139
	s_delay_alu instid0(VALU_DEP_1) | instskip(NEXT) | instid1(VALU_DEP_1)
	v_add_f32_e32 v2, v2, v135
	v_add_f32_e32 v2, v2, v129
	s_delay_alu instid0(VALU_DEP_1) | instskip(SKIP_4) | instid1(VALU_DEP_4)
	v_add_f32_e32 v2, v2, v89
	v_dual_sub_f32 v89, v90, v89 :: v_dual_fmac_f32 v166, 0xbf0a6770, v79
	v_dual_fmac_f32 v170, 0xbf7d64f0, v79 :: v_dual_add_f32 v79, v153, v42
	v_add_f32_e32 v42, v153, v171
	v_add_f32_e32 v64, v153, v175
	;; [unrolled: 1-line block ×3, first 2 shown]
	s_delay_alu instid0(VALU_DEP_4) | instskip(SKIP_4) | instid1(VALU_DEP_4)
	v_add_f32_e32 v58, v153, v170
	v_dual_mul_f32 v90, 0xbf68dda4, v151 :: v_dual_sub_f32 v153, v133, v128
	v_add_f32_e32 v2, v2, v4
	v_add_f32_e32 v128, v132, v129
	v_sub_f32_e32 v129, v132, v129
	v_fmamk_f32 v4, v88, 0x3ed4b147, v90
	v_mul_f32_e32 v132, 0xbf7d64f0, v153
	v_fmamk_f32 v5, v89, 0x3f68dda4, v91
	v_fmac_f32_e32 v91, 0xbf68dda4, v89
	v_mul_f32_e32 v166, 0x3e903f40, v151
	v_add_f32_e32 v4, v4, v177
	v_fmamk_f32 v133, v128, 0xbe11bafb, v132
	v_add_f32_e32 v5, v5, v178
	s_delay_alu instid0(VALU_DEP_2) | instskip(SKIP_1) | instid1(VALU_DEP_1)
	v_add_f32_e32 v4, v133, v4
	v_mul_f32_e32 v133, 0xbe11bafb, v152
	v_fmamk_f32 v154, v129, 0x3f7d64f0, v133
	v_fmac_f32_e32 v133, 0xbf7d64f0, v129
	s_delay_alu instid0(VALU_DEP_2) | instskip(SKIP_3) | instid1(VALU_DEP_4)
	v_dual_add_f32 v5, v154, v5 :: v_dual_add_f32 v154, v137, v134
	v_add_f32_e32 v134, v136, v135
	v_sub_f32_e32 v135, v136, v135
	v_mul_f32_e32 v136, 0xbf4178ce, v155
	v_mul_f32_e32 v163, 0xbe11bafb, v154
	s_delay_alu instid0(VALU_DEP_2) | instskip(NEXT) | instid1(VALU_DEP_1)
	v_fmamk_f32 v137, v134, 0xbf27a4f4, v136
	v_dual_add_f32 v4, v137, v4 :: v_dual_mul_f32 v137, 0xbf27a4f4, v154
	s_delay_alu instid0(VALU_DEP_1) | instskip(SKIP_1) | instid1(VALU_DEP_2)
	v_fmamk_f32 v157, v135, 0x3f4178ce, v137
	v_fmac_f32_e32 v137, 0xbf4178ce, v135
	v_add_f32_e32 v5, v157, v5
	v_dual_add_f32 v157, v143, v138 :: v_dual_add_f32 v138, v142, v139
	v_dual_sub_f32 v139, v142, v139 :: v_dual_mul_f32 v142, 0xbe903f40, v158
	s_delay_alu instid0(VALU_DEP_2) | instskip(SKIP_1) | instid1(VALU_DEP_3)
	v_mul_f32_e32 v165, 0x3f575c64, v157
	v_mul_f32_e32 v177, 0x3ed4b147, v157
	v_fmamk_f32 v143, v138, 0xbf75a155, v142
	s_delay_alu instid0(VALU_DEP_1) | instskip(NEXT) | instid1(VALU_DEP_1)
	v_dual_add_f32 v4, v143, v4 :: v_dual_mul_f32 v143, 0xbf75a155, v157
	v_fmamk_f32 v160, v139, 0x3e903f40, v143
	v_fmac_f32_e32 v143, 0xbe903f40, v139
	s_delay_alu instid0(VALU_DEP_2) | instskip(SKIP_2) | instid1(VALU_DEP_1)
	v_dual_add_f32 v5, v160, v5 :: v_dual_mul_f32 v160, 0xbf4178ce, v151
	ds_store_2addr_b64 v244, v[2:3], v[4:5] offset1:51
	v_fmamk_f32 v2, v88, 0xbf27a4f4, v160
	v_dual_add_f32 v2, v2, v159 :: v_dual_mul_f32 v159, 0xbf27a4f4, v150
	s_delay_alu instid0(VALU_DEP_1) | instskip(SKIP_1) | instid1(VALU_DEP_2)
	v_fmamk_f32 v3, v89, 0x3f4178ce, v159
	v_fmac_f32_e32 v159, 0xbf4178ce, v89
	v_dual_add_f32 v3, v3, v156 :: v_dual_mul_f32 v156, 0x3e903f40, v153
	s_delay_alu instid0(VALU_DEP_1) | instskip(NEXT) | instid1(VALU_DEP_1)
	v_fmamk_f32 v4, v128, 0xbf75a155, v156
	v_add_f32_e32 v2, v4, v2
	v_fmamk_f32 v4, v129, 0xbe903f40, v161
	v_fmac_f32_e32 v161, 0x3e903f40, v129
	s_delay_alu instid0(VALU_DEP_2) | instskip(NEXT) | instid1(VALU_DEP_1)
	v_dual_add_f32 v3, v4, v3 :: v_dual_fmamk_f32 v4, v134, 0xbe11bafb, v162
	v_add_f32_e32 v2, v4, v2
	v_fmamk_f32 v4, v135, 0xbf7d64f0, v163
	v_fmac_f32_e32 v163, 0x3f7d64f0, v135
	s_delay_alu instid0(VALU_DEP_2) | instskip(NEXT) | instid1(VALU_DEP_1)
	v_dual_add_f32 v3, v4, v3 :: v_dual_fmamk_f32 v4, v138, 0x3f575c64, v164
	v_add_f32_e32 v2, v4, v2
	v_fmamk_f32 v4, v139, 0xbf0a6770, v165
	v_fmac_f32_e32 v165, 0x3f0a6770, v139
	s_delay_alu instid0(VALU_DEP_2) | instskip(SKIP_1) | instid1(VALU_DEP_1)
	v_add_f32_e32 v3, v4, v3
	v_fmamk_f32 v4, v88, 0xbf75a155, v166
	v_dual_add_f32 v4, v4, v149 :: v_dual_mul_f32 v149, 0xbf75a155, v150
	s_delay_alu instid0(VALU_DEP_1) | instskip(SKIP_2) | instid1(VALU_DEP_3)
	v_fmamk_f32 v5, v89, 0xbe903f40, v149
	v_fmac_f32_e32 v149, 0x3e903f40, v89
	v_mul_f32_e32 v175, 0xbf75a155, v154
	v_dual_add_f32 v5, v5, v148 :: v_dual_mul_f32 v148, 0x3f68dda4, v153
	s_delay_alu instid0(VALU_DEP_1) | instskip(NEXT) | instid1(VALU_DEP_1)
	v_fmamk_f32 v167, v128, 0x3ed4b147, v148
	v_add_f32_e32 v4, v167, v4
	v_mul_f32_e32 v167, 0x3ed4b147, v152
	s_delay_alu instid0(VALU_DEP_1) | instskip(SKIP_1) | instid1(VALU_DEP_2)
	v_fmamk_f32 v168, v129, 0xbf68dda4, v167
	v_fmac_f32_e32 v167, 0x3f68dda4, v129
	v_dual_add_f32 v5, v168, v5 :: v_dual_mul_f32 v168, 0xbf0a6770, v155
	s_delay_alu instid0(VALU_DEP_1) | instskip(NEXT) | instid1(VALU_DEP_1)
	v_fmamk_f32 v169, v134, 0x3f575c64, v168
	v_dual_add_f32 v4, v169, v4 :: v_dual_mul_f32 v169, 0x3f575c64, v154
	s_delay_alu instid0(VALU_DEP_1) | instskip(SKIP_1) | instid1(VALU_DEP_2)
	v_fmamk_f32 v170, v135, 0x3f0a6770, v169
	v_fmac_f32_e32 v169, 0xbf0a6770, v135
	v_dual_add_f32 v5, v170, v5 :: v_dual_mul_f32 v170, 0xbf4178ce, v158
	s_delay_alu instid0(VALU_DEP_1) | instskip(NEXT) | instid1(VALU_DEP_1)
	v_fmamk_f32 v171, v138, 0xbf27a4f4, v170
	v_dual_add_f32 v4, v171, v4 :: v_dual_mul_f32 v171, 0xbf27a4f4, v157
	s_delay_alu instid0(VALU_DEP_1) | instskip(SKIP_1) | instid1(VALU_DEP_2)
	v_fmamk_f32 v172, v139, 0x3f4178ce, v171
	v_fmac_f32_e32 v171, 0xbf4178ce, v139
	v_dual_add_f32 v5, v172, v5 :: v_dual_mul_f32 v172, 0x3f7d64f0, v151
	v_mul_f32_e32 v151, 0x3f0a6770, v151
	ds_store_2addr_b64 v244, v[2:3], v[4:5] offset0:102 offset1:153
	v_fmamk_f32 v2, v88, 0xbe11bafb, v172
	s_delay_alu instid0(VALU_DEP_1) | instskip(NEXT) | instid1(VALU_DEP_1)
	v_dual_add_f32 v2, v2, v147 :: v_dual_mul_f32 v147, 0xbe11bafb, v150
	v_fmamk_f32 v3, v89, 0xbf7d64f0, v147
	v_fmac_f32_e32 v147, 0x3f7d64f0, v89
	s_delay_alu instid0(VALU_DEP_2) | instskip(NEXT) | instid1(VALU_DEP_1)
	v_dual_add_f32 v3, v3, v146 :: v_dual_mul_f32 v146, 0xbf0a6770, v153
	v_fmamk_f32 v4, v128, 0x3f575c64, v146
	s_delay_alu instid0(VALU_DEP_1) | instskip(SKIP_2) | instid1(VALU_DEP_2)
	v_add_f32_e32 v2, v4, v2
	v_fmamk_f32 v4, v129, 0x3f0a6770, v173
	v_fmac_f32_e32 v173, 0xbf0a6770, v129
	v_dual_add_f32 v3, v4, v3 :: v_dual_fmamk_f32 v4, v134, 0xbf75a155, v174
	s_delay_alu instid0(VALU_DEP_1) | instskip(SKIP_2) | instid1(VALU_DEP_2)
	v_add_f32_e32 v2, v4, v2
	v_fmamk_f32 v4, v135, 0x3e903f40, v175
	v_fmac_f32_e32 v175, 0xbe903f40, v135
	v_dual_add_f32 v3, v4, v3 :: v_dual_fmamk_f32 v4, v138, 0x3ed4b147, v176
	s_delay_alu instid0(VALU_DEP_1) | instskip(SKIP_2) | instid1(VALU_DEP_2)
	v_add_f32_e32 v2, v4, v2
	v_fmamk_f32 v4, v139, 0xbf68dda4, v177
	v_fmac_f32_e32 v177, 0x3f68dda4, v139
	v_add_f32_e32 v3, v4, v3
	v_fmamk_f32 v4, v88, 0x3f575c64, v151
	s_delay_alu instid0(VALU_DEP_1) | instskip(NEXT) | instid1(VALU_DEP_1)
	v_dual_add_f32 v4, v4, v145 :: v_dual_mul_f32 v145, 0x3f575c64, v150
	v_fmamk_f32 v5, v89, 0xbf0a6770, v145
	v_fmac_f32_e32 v145, 0x3f0a6770, v89
	s_delay_alu instid0(VALU_DEP_2) | instskip(NEXT) | instid1(VALU_DEP_1)
	v_dual_add_f32 v5, v5, v144 :: v_dual_mul_f32 v144, 0xbf4178ce, v153
	v_fmamk_f32 v150, v128, 0xbf27a4f4, v144
	s_delay_alu instid0(VALU_DEP_1) | instskip(SKIP_1) | instid1(VALU_DEP_1)
	v_add_f32_e32 v4, v150, v4
	v_mul_f32_e32 v150, 0xbf27a4f4, v152
	v_fmamk_f32 v152, v129, 0x3f4178ce, v150
	v_fmac_f32_e32 v150, 0xbf4178ce, v129
	s_delay_alu instid0(VALU_DEP_2) | instskip(SKIP_1) | instid1(VALU_DEP_2)
	v_dual_add_f32 v5, v152, v5 :: v_dual_mul_f32 v152, 0x3f68dda4, v155
	v_mul_f32_e32 v155, 0xbe11bafb, v157
	v_fmamk_f32 v153, v134, 0x3ed4b147, v152
	s_delay_alu instid0(VALU_DEP_1) | instskip(NEXT) | instid1(VALU_DEP_1)
	v_dual_add_f32 v4, v153, v4 :: v_dual_mul_f32 v153, 0x3ed4b147, v154
	v_fmamk_f32 v154, v135, 0xbf68dda4, v153
	v_fmac_f32_e32 v153, 0x3f68dda4, v135
	s_delay_alu instid0(VALU_DEP_2) | instskip(NEXT) | instid1(VALU_DEP_1)
	v_dual_add_f32 v5, v154, v5 :: v_dual_mul_f32 v154, 0xbf7d64f0, v158
	v_fmamk_f32 v157, v138, 0xbe11bafb, v154
	s_delay_alu instid0(VALU_DEP_1) | instskip(SKIP_1) | instid1(VALU_DEP_2)
	v_dual_add_f32 v4, v157, v4 :: v_dual_fmamk_f32 v157, v139, 0x3f7d64f0, v155
	v_fmac_f32_e32 v155, 0xbf7d64f0, v139
	v_add_f32_e32 v5, v157, v5
	ds_store_2addr_b64 v244, v[2:3], v[4:5] offset0:204 offset1:255
	v_fma_f32 v2, 0xbe11bafb, v88, -v172
	v_fma_f32 v4, 0x3f575c64, v128, -v146
	v_add_f32_e32 v3, v147, v140
	v_add_f32_e32 v5, v145, v130
	v_fma_f32 v130, 0xbf27a4f4, v128, -v144
	s_delay_alu instid0(VALU_DEP_3) | instskip(NEXT) | instid1(VALU_DEP_1)
	v_dual_add_f32 v2, v2, v141 :: v_dual_add_f32 v3, v173, v3
	v_dual_add_f32 v5, v150, v5 :: v_dual_add_f32 v2, v4, v2
	v_fma_f32 v4, 0xbf75a155, v134, -v174
	s_delay_alu instid0(VALU_DEP_3) | instskip(NEXT) | instid1(VALU_DEP_2)
	v_add_f32_e32 v3, v175, v3
	v_dual_add_f32 v5, v153, v5 :: v_dual_add_f32 v2, v4, v2
	v_fma_f32 v4, 0x3ed4b147, v138, -v176
	s_delay_alu instid0(VALU_DEP_3) | instskip(NEXT) | instid1(VALU_DEP_2)
	v_add_f32_e32 v3, v177, v3
	v_dual_add_f32 v5, v155, v5 :: v_dual_add_f32 v2, v4, v2
	v_fma_f32 v4, 0x3f575c64, v88, -v151
	s_delay_alu instid0(VALU_DEP_1) | instskip(NEXT) | instid1(VALU_DEP_1)
	v_add_f32_e32 v4, v4, v131
	v_add_f32_e32 v4, v130, v4
	v_fma_f32 v130, 0x3ed4b147, v134, -v152
	s_delay_alu instid0(VALU_DEP_1) | instskip(SKIP_1) | instid1(VALU_DEP_1)
	v_add_f32_e32 v4, v130, v4
	v_fma_f32 v130, 0xbe11bafb, v138, -v154
	v_add_f32_e32 v4, v130, v4
	ds_store_2addr_b64 v7, v[4:5], v[2:3] offset0:50 offset1:101
	v_add_f32_e32 v3, v159, v82
	v_fma_f32 v2, 0xbf27a4f4, v88, -v160
	v_add_f32_e32 v5, v149, v80
	v_fma_f32 v4, 0xbf75a155, v128, -v156
	v_fma_f32 v80, 0x3ed4b147, v128, -v148
	v_add_f32_e32 v3, v161, v3
	s_delay_alu instid0(VALU_DEP_4) | instskip(NEXT) | instid1(VALU_DEP_1)
	v_dual_add_f32 v2, v2, v83 :: v_dual_add_f32 v5, v167, v5
	v_dual_add_f32 v3, v163, v3 :: v_dual_add_f32 v2, v4, v2
	v_fma_f32 v4, 0xbe11bafb, v134, -v162
	s_delay_alu instid0(VALU_DEP_3) | instskip(NEXT) | instid1(VALU_DEP_2)
	v_add_f32_e32 v5, v169, v5
	v_dual_add_f32 v3, v165, v3 :: v_dual_add_f32 v2, v4, v2
	s_delay_alu instid0(VALU_DEP_2) | instskip(SKIP_1) | instid1(VALU_DEP_1)
	v_add_f32_e32 v5, v171, v5
	v_fma_f32 v4, 0x3f575c64, v138, -v164
	v_add_f32_e32 v2, v4, v2
	v_fma_f32 v4, 0xbf75a155, v88, -v166
	s_delay_alu instid0(VALU_DEP_1) | instskip(NEXT) | instid1(VALU_DEP_1)
	v_add_f32_e32 v4, v4, v81
	v_add_f32_e32 v4, v80, v4
	v_fma_f32 v80, 0x3f575c64, v134, -v168
	s_delay_alu instid0(VALU_DEP_1) | instskip(SKIP_1) | instid1(VALU_DEP_1)
	v_add_f32_e32 v4, v80, v4
	v_fma_f32 v80, 0xbf27a4f4, v138, -v170
	v_add_f32_e32 v4, v80, v4
	ds_store_2addr_b64 v7, v[4:5], v[2:3] offset0:152 offset1:203
	v_fma_f32 v2, 0x3ed4b147, v88, -v90
	v_fma_f32 v4, 0xbe11bafb, v128, -v132
	s_delay_alu instid0(VALU_DEP_2) | instskip(SKIP_1) | instid1(VALU_DEP_2)
	v_dual_add_f32 v5, v79, v10 :: v_dual_add_f32 v2, v2, v75
	v_add_f32_e32 v3, v91, v76
	v_add_f32_e32 v5, v5, v57
	v_sub_f32_e32 v75, v56, v39
	s_delay_alu instid0(VALU_DEP_4) | instskip(SKIP_1) | instid1(VALU_DEP_4)
	v_add_f32_e32 v2, v4, v2
	v_fma_f32 v4, 0xbf27a4f4, v134, -v136
	v_add_f32_e32 v5, v5, v56
	v_add_f32_e32 v3, v133, v3
	v_mul_f32_e32 v128, 0xbf0a6770, v75
	s_delay_alu instid0(VALU_DEP_4) | instskip(SKIP_2) | instid1(VALU_DEP_2)
	v_add_f32_e32 v2, v4, v2
	v_fma_f32 v4, 0xbf75a155, v138, -v142
	v_add_f32_e32 v5, v5, v52
	v_dual_add_f32 v3, v137, v3 :: v_dual_add_f32 v2, v4, v2
	v_add_f32_e32 v4, v77, v40
	s_delay_alu instid0(VALU_DEP_3) | instskip(NEXT) | instid1(VALU_DEP_3)
	v_add_f32_e32 v5, v5, v34
	v_add_f32_e32 v3, v143, v3
	v_sub_f32_e32 v77, v52, v34
	v_add_f32_e32 v34, v52, v34
	v_add_f32_e32 v4, v4, v55
	;; [unrolled: 1-line block ×3, first 2 shown]
	v_dual_add_f32 v39, v56, v39 :: v_dual_add_f32 v56, v35, v38
	v_add_f32_e32 v52, v47, v53
	s_delay_alu instid0(VALU_DEP_4) | instskip(NEXT) | instid1(VALU_DEP_4)
	v_dual_add_f32 v4, v4, v35 :: v_dual_sub_f32 v35, v35, v38
	v_add_f32_e32 v5, v5, v54
	s_delay_alu instid0(VALU_DEP_4) | instskip(NEXT) | instid1(VALU_DEP_3)
	v_mul_f32_e32 v129, 0x3f575c64, v39
	v_dual_mul_f32 v131, 0xbf27a4f4, v34 :: v_dual_add_f32 v4, v4, v47
	v_sub_f32_e32 v47, v47, v53
	s_delay_alu instid0(VALU_DEP_4) | instskip(NEXT) | instid1(VALU_DEP_3)
	v_dual_add_f32 v5, v5, v37 :: v_dual_mul_f32 v76, 0xbf27a4f4, v39
	v_dual_mul_f32 v79, 0xbf75a155, v34 :: v_dual_add_f32 v4, v4, v53
	v_mul_f32_e32 v53, 0xbe903f40, v77
	s_delay_alu instid0(VALU_DEP_3) | instskip(NEXT) | instid1(VALU_DEP_3)
	v_dual_add_f32 v5, v5, v46 :: v_dual_mul_f32 v130, 0xbf4178ce, v77
	v_add_f32_e32 v4, v4, v38
	v_mul_f32_e32 v38, 0xbf4178ce, v75
	s_delay_alu instid0(VALU_DEP_2) | instskip(NEXT) | instid1(VALU_DEP_1)
	v_add_f32_e32 v4, v4, v60
	v_add_f32_e32 v4, v4, v36
	s_delay_alu instid0(VALU_DEP_1)
	v_add_f32_e32 v4, v4, v45
	v_sub_f32_e32 v45, v10, v37
	v_dual_add_f32 v10, v10, v37 :: v_dual_add_f32 v37, v40, v36
	v_sub_f32_e32 v36, v40, v36
	ds_store_2addr_b64 v6, v[2:3], v[4:5] offset0:126 offset1:177
	v_mul_f32_e32 v40, 0xbf68dda4, v45
	v_mul_f32_e32 v46, 0x3ed4b147, v10
	;; [unrolled: 1-line block ×4, first 2 shown]
	s_delay_alu instid0(VALU_DEP_4) | instskip(NEXT) | instid1(VALU_DEP_1)
	v_fmamk_f32 v2, v37, 0x3ed4b147, v40
	v_dual_fmamk_f32 v3, v36, 0x3f68dda4, v46 :: v_dual_add_f32 v2, v2, v74
	s_delay_alu instid0(VALU_DEP_1) | instskip(SKIP_2) | instid1(VALU_DEP_2)
	v_add_f32_e32 v3, v3, v73
	v_sub_f32_e32 v73, v57, v54
	v_dual_add_f32 v54, v57, v54 :: v_dual_add_f32 v57, v55, v60
	v_dual_sub_f32 v55, v55, v60 :: v_dual_mul_f32 v60, 0xbf7d64f0, v73
	s_delay_alu instid0(VALU_DEP_2) | instskip(SKIP_1) | instid1(VALU_DEP_3)
	v_mul_f32_e32 v74, 0xbe11bafb, v54
	v_mul_f32_e32 v91, 0x3ed4b147, v54
	v_fmamk_f32 v4, v57, 0xbe11bafb, v60
	s_delay_alu instid0(VALU_DEP_1) | instskip(NEXT) | instid1(VALU_DEP_4)
	v_add_f32_e32 v2, v4, v2
	v_fmamk_f32 v4, v55, 0x3f7d64f0, v74
	s_delay_alu instid0(VALU_DEP_1) | instskip(SKIP_1) | instid1(VALU_DEP_1)
	v_add_f32_e32 v3, v4, v3
	v_fmamk_f32 v4, v56, 0xbf27a4f4, v38
	v_add_f32_e32 v2, v4, v2
	v_fmamk_f32 v4, v35, 0x3f4178ce, v76
	s_delay_alu instid0(VALU_DEP_1) | instskip(SKIP_1) | instid1(VALU_DEP_1)
	v_add_f32_e32 v3, v4, v3
	v_fmamk_f32 v4, v52, 0xbf75a155, v53
	v_add_f32_e32 v2, v4, v2
	v_fmamk_f32 v4, v47, 0x3e903f40, v79
	v_fmac_f32_e32 v79, 0xbe903f40, v47
	s_delay_alu instid0(VALU_DEP_2) | instskip(NEXT) | instid1(VALU_DEP_1)
	v_dual_add_f32 v3, v4, v3 :: v_dual_fmamk_f32 v4, v37, 0xbf27a4f4, v80
	v_add_f32_e32 v4, v4, v72
	v_mul_f32_e32 v72, 0xbf27a4f4, v10
	s_delay_alu instid0(VALU_DEP_1) | instskip(NEXT) | instid1(VALU_DEP_1)
	v_fmamk_f32 v5, v36, 0x3f4178ce, v72
	v_add_f32_e32 v5, v5, v71
	v_mul_f32_e32 v71, 0x3e903f40, v73
	s_delay_alu instid0(VALU_DEP_1) | instskip(NEXT) | instid1(VALU_DEP_1)
	v_fmamk_f32 v81, v57, 0xbf75a155, v71
	v_dual_add_f32 v4, v81, v4 :: v_dual_mul_f32 v81, 0xbf75a155, v54
	s_delay_alu instid0(VALU_DEP_1) | instskip(SKIP_1) | instid1(VALU_DEP_2)
	v_fmamk_f32 v82, v55, 0xbe903f40, v81
	v_fmac_f32_e32 v81, 0x3e903f40, v55
	v_dual_add_f32 v5, v82, v5 :: v_dual_mul_f32 v82, 0x3f7d64f0, v75
	s_delay_alu instid0(VALU_DEP_1) | instskip(NEXT) | instid1(VALU_DEP_1)
	v_fmamk_f32 v83, v56, 0xbe11bafb, v82
	v_dual_add_f32 v4, v83, v4 :: v_dual_mul_f32 v83, 0xbe11bafb, v39
	s_delay_alu instid0(VALU_DEP_1) | instskip(SKIP_1) | instid1(VALU_DEP_2)
	v_fmamk_f32 v88, v35, 0xbf7d64f0, v83
	v_fmac_f32_e32 v83, 0x3f7d64f0, v35
	v_add_f32_e32 v5, v88, v5
	v_mul_f32_e32 v88, 0x3f0a6770, v77
	s_delay_alu instid0(VALU_DEP_1) | instskip(NEXT) | instid1(VALU_DEP_1)
	v_fmamk_f32 v89, v52, 0x3f575c64, v88
	v_dual_add_f32 v4, v89, v4 :: v_dual_mul_f32 v89, 0x3f575c64, v34
	s_delay_alu instid0(VALU_DEP_1) | instskip(SKIP_1) | instid1(VALU_DEP_2)
	v_fmamk_f32 v90, v47, 0xbf0a6770, v89
	v_fmac_f32_e32 v89, 0x3f0a6770, v47
	v_add_f32_e32 v5, v90, v5
	v_mul_f32_e32 v90, 0x3e903f40, v45
	ds_store_2addr_b64 v22, v[2:3], v[4:5] offset0:100 offset1:151
	v_fmamk_f32 v2, v37, 0xbf75a155, v90
	s_delay_alu instid0(VALU_DEP_1) | instskip(SKIP_1) | instid1(VALU_DEP_1)
	v_add_f32_e32 v2, v2, v70
	v_mul_f32_e32 v70, 0xbf75a155, v10
	v_fmamk_f32 v3, v36, 0xbe903f40, v70
	s_delay_alu instid0(VALU_DEP_1) | instskip(SKIP_1) | instid1(VALU_DEP_1)
	v_dual_fmac_f32 v70, 0x3e903f40, v36 :: v_dual_add_f32 v3, v3, v69
	v_mul_f32_e32 v69, 0x3f68dda4, v73
	v_fmamk_f32 v4, v57, 0x3ed4b147, v69
	s_delay_alu instid0(VALU_DEP_1) | instskip(SKIP_2) | instid1(VALU_DEP_2)
	v_add_f32_e32 v2, v4, v2
	v_fmamk_f32 v4, v55, 0xbf68dda4, v91
	v_fmac_f32_e32 v91, 0x3f68dda4, v55
	v_add_f32_e32 v3, v4, v3
	v_fmamk_f32 v4, v56, 0x3f575c64, v128
	s_delay_alu instid0(VALU_DEP_1) | instskip(SKIP_2) | instid1(VALU_DEP_2)
	v_add_f32_e32 v2, v4, v2
	v_fmamk_f32 v4, v35, 0x3f0a6770, v129
	v_fmac_f32_e32 v129, 0xbf0a6770, v35
	v_add_f32_e32 v3, v4, v3
	v_fmamk_f32 v4, v52, 0xbf27a4f4, v130
	s_delay_alu instid0(VALU_DEP_1) | instskip(SKIP_2) | instid1(VALU_DEP_2)
	v_add_f32_e32 v2, v4, v2
	v_fmamk_f32 v4, v47, 0x3f4178ce, v131
	v_fmac_f32_e32 v131, 0xbf4178ce, v47
	v_dual_add_f32 v3, v4, v3 :: v_dual_fmamk_f32 v4, v37, 0xbe11bafb, v132
	s_delay_alu instid0(VALU_DEP_1) | instskip(NEXT) | instid1(VALU_DEP_1)
	v_dual_add_f32 v4, v4, v67 :: v_dual_mul_f32 v67, 0xbe11bafb, v10
	v_fmamk_f32 v5, v36, 0xbf7d64f0, v67
	s_delay_alu instid0(VALU_DEP_1) | instskip(NEXT) | instid1(VALU_DEP_1)
	v_dual_add_f32 v5, v5, v66 :: v_dual_mul_f32 v66, 0xbf0a6770, v73
	v_fmamk_f32 v133, v57, 0x3f575c64, v66
	s_delay_alu instid0(VALU_DEP_1) | instskip(NEXT) | instid1(VALU_DEP_1)
	v_dual_add_f32 v4, v133, v4 :: v_dual_mul_f32 v133, 0x3f575c64, v54
	v_fmamk_f32 v134, v55, 0x3f0a6770, v133
	v_fmac_f32_e32 v133, 0xbf0a6770, v55
	s_delay_alu instid0(VALU_DEP_2) | instskip(NEXT) | instid1(VALU_DEP_1)
	v_dual_add_f32 v5, v134, v5 :: v_dual_mul_f32 v134, 0xbe903f40, v75
	v_fmamk_f32 v135, v56, 0xbf75a155, v134
	s_delay_alu instid0(VALU_DEP_1) | instskip(SKIP_1) | instid1(VALU_DEP_2)
	v_dual_add_f32 v4, v135, v4 :: v_dual_mul_f32 v135, 0xbf75a155, v39
	v_mul_f32_e32 v39, 0x3ed4b147, v39
	v_fmamk_f32 v136, v35, 0x3e903f40, v135
	v_fmac_f32_e32 v135, 0xbe903f40, v35
	s_delay_alu instid0(VALU_DEP_2) | instskip(SKIP_1) | instid1(VALU_DEP_1)
	v_add_f32_e32 v5, v136, v5
	v_mul_f32_e32 v136, 0x3f68dda4, v77
	v_fmamk_f32 v137, v52, 0x3ed4b147, v136
	s_delay_alu instid0(VALU_DEP_1) | instskip(NEXT) | instid1(VALU_DEP_1)
	v_dual_add_f32 v4, v137, v4 :: v_dual_mul_f32 v137, 0x3ed4b147, v34
	v_fmamk_f32 v138, v47, 0xbf68dda4, v137
	v_fmac_f32_e32 v137, 0x3f68dda4, v47
	s_delay_alu instid0(VALU_DEP_2) | instskip(SKIP_4) | instid1(VALU_DEP_3)
	v_dual_mul_f32 v34, 0xbe11bafb, v34 :: v_dual_add_f32 v5, v138, v5
	ds_store_2addr_b64 v22, v[2:3], v[4:5] offset0:202 offset1:253
	v_mul_f32_e32 v4, 0x3f0a6770, v45
	v_mul_f32_e32 v5, 0x3f575c64, v10
	v_mul_f32_e32 v10, 0xbf4178ce, v73
	v_fmamk_f32 v2, v37, 0x3f575c64, v4
	s_delay_alu instid0(VALU_DEP_3) | instskip(NEXT) | instid1(VALU_DEP_3)
	v_fmamk_f32 v3, v36, 0xbf0a6770, v5
	v_fmamk_f32 v45, v57, 0xbf27a4f4, v10
	v_fma_f32 v4, 0x3f575c64, v37, -v4
	s_delay_alu instid0(VALU_DEP_4) | instskip(NEXT) | instid1(VALU_DEP_4)
	v_dual_fmac_f32 v5, 0x3f0a6770, v36 :: v_dual_add_f32 v2, v2, v65
	v_add_f32_e32 v3, v3, v64
	v_fma_f32 v10, 0xbf27a4f4, v57, -v10
	s_delay_alu instid0(VALU_DEP_3) | instskip(NEXT) | instid1(VALU_DEP_4)
	v_dual_add_f32 v4, v4, v63 :: v_dual_add_f32 v5, v5, v61
	v_add_f32_e32 v2, v45, v2
	s_delay_alu instid0(VALU_DEP_2) | instskip(NEXT) | instid1(VALU_DEP_1)
	v_dual_mul_f32 v45, 0xbf27a4f4, v54 :: v_dual_add_f32 v4, v10, v4
	v_fmamk_f32 v54, v55, 0x3f4178ce, v45
	v_fmac_f32_e32 v45, 0xbf4178ce, v55
	s_delay_alu instid0(VALU_DEP_2) | instskip(NEXT) | instid1(VALU_DEP_2)
	v_add_f32_e32 v3, v54, v3
	v_dual_mul_f32 v54, 0x3f68dda4, v75 :: v_dual_add_f32 v5, v45, v5
	s_delay_alu instid0(VALU_DEP_1) | instskip(SKIP_1) | instid1(VALU_DEP_2)
	v_fmamk_f32 v64, v56, 0x3ed4b147, v54
	v_fma_f32 v10, 0x3ed4b147, v56, -v54
	v_add_f32_e32 v2, v64, v2
	v_fmamk_f32 v64, v35, 0xbf68dda4, v39
	s_delay_alu instid0(VALU_DEP_3) | instskip(NEXT) | instid1(VALU_DEP_2)
	v_dual_fmac_f32 v39, 0x3f68dda4, v35 :: v_dual_add_f32 v4, v10, v4
	v_dual_add_f32 v3, v64, v3 :: v_dual_mul_f32 v64, 0xbf7d64f0, v77
	s_delay_alu instid0(VALU_DEP_2) | instskip(NEXT) | instid1(VALU_DEP_2)
	v_add_f32_e32 v5, v39, v5
	v_fmamk_f32 v65, v52, 0xbe11bafb, v64
	v_fma_f32 v10, 0xbe11bafb, v52, -v64
	s_delay_alu instid0(VALU_DEP_2) | instskip(SKIP_1) | instid1(VALU_DEP_3)
	v_dual_add_f32 v2, v65, v2 :: v_dual_fmamk_f32 v65, v47, 0x3f7d64f0, v34
	v_fmac_f32_e32 v34, 0xbf7d64f0, v47
	v_add_f32_e32 v4, v10, v4
	v_fma_f32 v10, 0x3f575c64, v57, -v66
	s_delay_alu instid0(VALU_DEP_4) | instskip(NEXT) | instid1(VALU_DEP_4)
	v_add_f32_e32 v3, v65, v3
	v_add_f32_e32 v5, v34, v5
	ds_store_2addr_b64 v62, v[2:3], v[4:5] offset0:48 offset1:99
	v_fma_f32 v2, 0xbf75a155, v37, -v90
	v_fma_f32 v4, 0x3ed4b147, v57, -v69
	v_add_f32_e32 v3, v70, v58
	s_delay_alu instid0(VALU_DEP_3) | instskip(NEXT) | instid1(VALU_DEP_2)
	v_add_f32_e32 v2, v2, v59
	v_add_f32_e32 v3, v91, v3
	v_fmac_f32_e32 v67, 0x3f7d64f0, v36
	v_fmac_f32_e32 v72, 0xbf4178ce, v36
	s_delay_alu instid0(VALU_DEP_4) | instskip(SKIP_3) | instid1(VALU_DEP_3)
	v_add_f32_e32 v2, v4, v2
	v_fma_f32 v4, 0x3f575c64, v56, -v128
	v_add_f32_e32 v3, v129, v3
	v_add_f32_e32 v5, v67, v42
	;; [unrolled: 1-line block ×3, first 2 shown]
	v_fma_f32 v4, 0xbf27a4f4, v52, -v130
	s_delay_alu instid0(VALU_DEP_3) | instskip(SKIP_1) | instid1(VALU_DEP_3)
	v_add_f32_e32 v5, v133, v5
	v_dual_add_f32 v3, v131, v3 :: v_dual_fmac_f32 v46, 0xbf68dda4, v36
	v_add_f32_e32 v2, v4, v2
	v_fma_f32 v4, 0xbe11bafb, v37, -v132
	s_delay_alu instid0(VALU_DEP_1) | instskip(NEXT) | instid1(VALU_DEP_1)
	v_dual_add_f32 v5, v135, v5 :: v_dual_add_f32 v4, v4, v43
	v_dual_add_f32 v5, v137, v5 :: v_dual_fmac_f32 v74, 0xbf7d64f0, v55
	s_delay_alu instid0(VALU_DEP_2) | instskip(SKIP_1) | instid1(VALU_DEP_1)
	v_add_f32_e32 v4, v10, v4
	v_fma_f32 v10, 0xbf75a155, v56, -v134
	v_add_f32_e32 v4, v10, v4
	v_fma_f32 v10, 0x3ed4b147, v52, -v136
	s_delay_alu instid0(VALU_DEP_1)
	v_add_f32_e32 v4, v10, v4
	v_add_f32_e32 v10, v30, v12
	ds_store_2addr_b64 v62, v[4:5], v[2:3] offset0:150 offset1:201
	v_add_f32_e32 v3, v46, v11
	v_add_f32_e32 v5, v72, v9
	v_fma_f32 v2, 0x3ed4b147, v37, -v40
	v_fma_f32 v4, 0xbe11bafb, v57, -v60
	v_add_f32_e32 v9, v31, v17
	v_add_f32_e32 v3, v74, v3
	v_dual_add_f32 v5, v81, v5 :: v_dual_fmac_f32 v76, 0xbf4178ce, v35
	v_add_f32_e32 v2, v2, v41
	v_sub_f32_e32 v11, v30, v12
	v_mul_f32_e32 v69, 0xbf27a4f4, v9
	s_delay_alu instid0(VALU_DEP_4)
	v_add_f32_e32 v5, v83, v5
	v_add_f32_e32 v3, v76, v3
	v_add_f32_e32 v2, v4, v2
	v_fma_f32 v4, 0xbf27a4f4, v56, -v38
	v_mul_f32_e32 v43, 0x3ed4b147, v9
	v_add_f32_e32 v5, v89, v5
	v_add_f32_e32 v3, v79, v3
	scratch_load_b32 v79, off, off offset:228 ; 4-byte Folded Reload
	v_add_f32_e32 v2, v4, v2
	v_fma_f32 v4, 0xbf75a155, v52, -v53
	v_mul_f32_e32 v58, 0xbe11bafb, v9
	s_delay_alu instid0(VALU_DEP_2) | instskip(SKIP_1) | instid1(VALU_DEP_1)
	v_add_f32_e32 v2, v4, v2
	v_fma_f32 v4, 0xbf27a4f4, v37, -v80
	v_add_f32_e32 v4, v4, v8
	v_fma_f32 v8, 0xbf75a155, v57, -v71
	s_delay_alu instid0(VALU_DEP_1) | instskip(SKIP_1) | instid1(VALU_DEP_1)
	v_add_f32_e32 v4, v8, v4
	v_fma_f32 v8, 0xbe11bafb, v56, -v82
	v_add_f32_e32 v4, v8, v4
	v_fma_f32 v8, 0x3f575c64, v52, -v88
	s_delay_alu instid0(VALU_DEP_1)
	v_add_f32_e32 v4, v8, v4
	v_sub_f32_e32 v8, v31, v17
	ds_store_2addr_b64 v78, v[4:5], v[2:3] offset0:124 offset1:175
	v_dual_add_f32 v2, v1, v31 :: v_dual_add_f32 v3, v0, v30
	v_mul_f32_e32 v30, 0x3f575c64, v9
	v_mul_f32_e32 v9, 0xbf75a155, v9
	s_delay_alu instid0(VALU_DEP_3) | instskip(NEXT) | instid1(VALU_DEP_1)
	v_dual_mul_f32 v41, 0xbf68dda4, v8 :: v_dual_add_f32 v2, v2, v29
	v_dual_add_f32 v3, v3, v28 :: v_dual_add_f32 v2, v2, v33
	s_delay_alu instid0(VALU_DEP_1) | instskip(NEXT) | instid1(VALU_DEP_1)
	v_dual_add_f32 v3, v3, v32 :: v_dual_add_f32 v2, v2, v27
	v_dual_add_f32 v3, v3, v26 :: v_dual_add_f32 v2, v2, v25
	s_delay_alu instid0(VALU_DEP_1) | instskip(NEXT) | instid1(VALU_DEP_1)
	v_dual_add_f32 v3, v3, v23 :: v_dual_add_f32 v2, v2, v24
	;; [unrolled: 3-line block ×3, first 2 shown]
	v_add_f32_e32 v3, v3, v19
	s_delay_alu instid0(VALU_DEP_2) | instskip(NEXT) | instid1(VALU_DEP_2)
	v_add_f32_e32 v2, v2, v15
	v_add_f32_e32 v4, v3, v13
	s_delay_alu instid0(VALU_DEP_1) | instskip(SKIP_3) | instid1(VALU_DEP_3)
	v_dual_add_f32 v3, v2, v17 :: v_dual_add_f32 v2, v4, v12
	v_dual_sub_f32 v12, v29, v15 :: v_dual_add_f32 v17, v28, v13
	v_dual_sub_f32 v13, v28, v13 :: v_dual_mul_f32 v28, 0xbf0a6770, v8
	v_add_f32_e32 v15, v29, v15
	v_mul_f32_e32 v29, 0xbf68dda4, v12
	v_mul_f32_e32 v57, 0x3e903f40, v12
	s_delay_alu instid0(VALU_DEP_4) | instskip(NEXT) | instid1(VALU_DEP_4)
	v_fmamk_f32 v4, v10, 0x3f575c64, v28
	v_mul_f32_e32 v31, 0x3ed4b147, v15
	s_delay_alu instid0(VALU_DEP_4) | instskip(SKIP_1) | instid1(VALU_DEP_4)
	v_fmamk_f32 v5, v17, 0x3ed4b147, v29
	v_mul_f32_e32 v45, 0xbf27a4f4, v15
	v_dual_mul_f32 v59, 0xbf75a155, v15 :: v_dual_add_f32 v4, v0, v4
	s_delay_alu instid0(VALU_DEP_4)
	v_fmamk_f32 v34, v13, 0x3f68dda4, v31
	v_mul_f32_e32 v70, 0xbe11bafb, v15
	v_mul_f32_e32 v15, 0x3f575c64, v15
	;; [unrolled: 1-line block ×3, first 2 shown]
	v_dual_add_f32 v4, v5, v4 :: v_dual_fmamk_f32 v5, v11, 0x3f0a6770, v30
	v_fmamk_f32 v60, v13, 0xbe903f40, v59
	s_delay_alu instid0(VALU_DEP_4) | instskip(SKIP_4) | instid1(VALU_DEP_2)
	v_fmamk_f32 v77, v13, 0xbf0a6770, v15
	v_fmac_f32_e32 v15, 0x3f0a6770, v13
	v_fmac_f32_e32 v59, 0x3e903f40, v13
	v_add_f32_e32 v5, v1, v5
	v_fmac_f32_e32 v31, 0xbf68dda4, v13
	v_dual_add_f32 v5, v34, v5 :: v_dual_sub_f32 v34, v33, v20
	v_dual_add_f32 v20, v33, v20 :: v_dual_add_f32 v33, v32, v19
	s_delay_alu instid0(VALU_DEP_2) | instskip(NEXT) | instid1(VALU_DEP_2)
	v_dual_sub_f32 v19, v32, v19 :: v_dual_mul_f32 v32, 0xbf7d64f0, v34
	v_mul_f32_e32 v47, 0xbf75a155, v20
	v_mul_f32_e32 v46, 0x3e903f40, v34
	;; [unrolled: 1-line block ×3, first 2 shown]
	s_delay_alu instid0(VALU_DEP_4) | instskip(NEXT) | instid1(VALU_DEP_1)
	v_fmamk_f32 v35, v33, 0xbe11bafb, v32
	v_add_f32_e32 v4, v35, v4
	v_mul_f32_e32 v35, 0xbe11bafb, v20
	s_delay_alu instid0(VALU_DEP_1) | instskip(SKIP_1) | instid1(VALU_DEP_2)
	v_fmamk_f32 v36, v19, 0x3f7d64f0, v35
	v_fmac_f32_e32 v35, 0xbf7d64f0, v19
	v_dual_add_f32 v5, v36, v5 :: v_dual_sub_f32 v36, v27, v18
	v_add_f32_e32 v18, v27, v18
	v_add_f32_e32 v27, v26, v14
	v_sub_f32_e32 v14, v26, v14
	s_delay_alu instid0(VALU_DEP_4) | instskip(NEXT) | instid1(VALU_DEP_4)
	v_mul_f32_e32 v26, 0xbf4178ce, v36
	v_mul_f32_e32 v53, 0xbe11bafb, v18
	;; [unrolled: 1-line block ×5, first 2 shown]
	v_fmamk_f32 v37, v27, 0xbf27a4f4, v26
	s_delay_alu instid0(VALU_DEP_1) | instskip(NEXT) | instid1(VALU_DEP_1)
	v_dual_add_f32 v4, v37, v4 :: v_dual_mul_f32 v37, 0xbf27a4f4, v18
	v_fmamk_f32 v38, v14, 0x3f4178ce, v37
	v_fmac_f32_e32 v37, 0xbf4178ce, v14
	s_delay_alu instid0(VALU_DEP_2) | instskip(SKIP_3) | instid1(VALU_DEP_3)
	v_dual_mul_f32 v56, 0xbf7d64f0, v8 :: v_dual_add_f32 v5, v38, v5
	v_sub_f32_e32 v38, v25, v24
	v_dual_add_f32 v24, v25, v24 :: v_dual_add_f32 v25, v23, v21
	v_sub_f32_e32 v21, v23, v21
	v_mul_f32_e32 v23, 0xbe903f40, v38
	v_mul_f32_e32 v54, 0x3f0a6770, v38
	;; [unrolled: 1-line block ×3, first 2 shown]
	s_delay_alu instid0(VALU_DEP_3) | instskip(NEXT) | instid1(VALU_DEP_1)
	v_fmamk_f32 v39, v25, 0xbf75a155, v23
	v_add_f32_e32 v4, v39, v4
	v_mul_f32_e32 v39, 0xbf75a155, v24
	s_delay_alu instid0(VALU_DEP_1) | instskip(SKIP_2) | instid1(VALU_DEP_2)
	v_fmamk_f32 v40, v21, 0x3e903f40, v39
	v_fmac_f32_e32 v39, 0xbe903f40, v21
	s_waitcnt vmcnt(0)
	v_dual_add_f32 v5, v40, v5 :: v_dual_add_nc_u32 v40, 0x2000, v79
	ds_store_2addr_b64 v40, v[2:3], v[4:5] offset0:98 offset1:149
	v_fmamk_f32 v4, v13, 0x3f4178ce, v45
	v_fmac_f32_e32 v45, 0xbf4178ce, v13
	v_fmamk_f32 v2, v10, 0x3ed4b147, v41
	v_fmamk_f32 v3, v17, 0xbf27a4f4, v42
	s_delay_alu instid0(VALU_DEP_2) | instskip(NEXT) | instid1(VALU_DEP_1)
	v_dual_fmamk_f32 v5, v17, 0xbf75a155, v57 :: v_dual_add_f32 v2, v0, v2
	v_add_f32_e32 v2, v3, v2
	v_fmamk_f32 v3, v11, 0x3f68dda4, v43
	v_fmac_f32_e32 v43, 0xbf68dda4, v11
	v_mul_f32_e32 v55, 0x3f575c64, v24
	s_delay_alu instid0(VALU_DEP_3) | instskip(NEXT) | instid1(VALU_DEP_1)
	v_dual_mul_f32 v76, 0x3ed4b147, v24 :: v_dual_add_f32 v3, v1, v3
	v_dual_add_f32 v3, v4, v3 :: v_dual_fmamk_f32 v4, v33, 0xbf75a155, v46
	s_delay_alu instid0(VALU_DEP_1) | instskip(SKIP_2) | instid1(VALU_DEP_2)
	v_add_f32_e32 v2, v4, v2
	v_fmamk_f32 v4, v19, 0xbe903f40, v47
	v_fmac_f32_e32 v47, 0x3e903f40, v19
	v_dual_add_f32 v3, v4, v3 :: v_dual_fmamk_f32 v4, v27, 0xbe11bafb, v52
	s_delay_alu instid0(VALU_DEP_1) | instskip(SKIP_2) | instid1(VALU_DEP_2)
	v_add_f32_e32 v2, v4, v2
	v_fmamk_f32 v4, v14, 0xbf7d64f0, v53
	v_fmac_f32_e32 v53, 0x3f7d64f0, v14
	v_dual_add_f32 v3, v4, v3 :: v_dual_fmamk_f32 v4, v25, 0x3f575c64, v54
	s_delay_alu instid0(VALU_DEP_1) | instskip(SKIP_2) | instid1(VALU_DEP_2)
	v_add_f32_e32 v2, v4, v2
	v_fmamk_f32 v4, v21, 0xbf0a6770, v55
	v_fmac_f32_e32 v55, 0x3f0a6770, v21
	v_dual_add_f32 v3, v4, v3 :: v_dual_fmamk_f32 v4, v10, 0xbe11bafb, v56
	s_delay_alu instid0(VALU_DEP_1) | instskip(NEXT) | instid1(VALU_DEP_1)
	v_add_f32_e32 v4, v0, v4
	v_dual_add_f32 v4, v5, v4 :: v_dual_fmamk_f32 v5, v11, 0x3f7d64f0, v58
	s_delay_alu instid0(VALU_DEP_1) | instskip(NEXT) | instid1(VALU_DEP_1)
	v_dual_fmac_f32 v58, 0xbf7d64f0, v11 :: v_dual_add_f32 v5, v1, v5
	v_dual_add_f32 v5, v60, v5 :: v_dual_mul_f32 v60, 0x3f68dda4, v34
	s_delay_alu instid0(VALU_DEP_1) | instskip(NEXT) | instid1(VALU_DEP_1)
	v_fmamk_f32 v61, v33, 0x3ed4b147, v60
	v_add_f32_e32 v4, v61, v4
	v_mul_f32_e32 v61, 0x3ed4b147, v20
	v_mul_f32_e32 v20, 0xbf27a4f4, v20
	s_delay_alu instid0(VALU_DEP_2) | instskip(SKIP_1) | instid1(VALU_DEP_2)
	v_fmamk_f32 v63, v19, 0xbf68dda4, v61
	v_fmac_f32_e32 v61, 0x3f68dda4, v19
	v_add_f32_e32 v5, v63, v5
	v_mul_f32_e32 v63, 0xbf0a6770, v36
	s_delay_alu instid0(VALU_DEP_1) | instskip(NEXT) | instid1(VALU_DEP_1)
	v_fmamk_f32 v64, v27, 0x3f575c64, v63
	v_add_f32_e32 v4, v64, v4
	v_mul_f32_e32 v64, 0x3f575c64, v18
	v_mul_f32_e32 v18, 0x3ed4b147, v18
	s_delay_alu instid0(VALU_DEP_2) | instskip(NEXT) | instid1(VALU_DEP_1)
	v_fmamk_f32 v65, v14, 0x3f0a6770, v64
	v_dual_fmac_f32 v64, 0xbf0a6770, v14 :: v_dual_add_f32 v5, v65, v5
	v_mul_f32_e32 v65, 0xbf4178ce, v38
	v_mul_f32_e32 v38, 0xbf7d64f0, v38
	s_delay_alu instid0(VALU_DEP_2) | instskip(NEXT) | instid1(VALU_DEP_1)
	v_fmamk_f32 v66, v25, 0xbf27a4f4, v65
	v_add_f32_e32 v4, v66, v4
	v_mul_f32_e32 v66, 0xbf27a4f4, v24
	v_mul_f32_e32 v24, 0xbe11bafb, v24
	s_delay_alu instid0(VALU_DEP_2) | instskip(SKIP_1) | instid1(VALU_DEP_2)
	v_fmamk_f32 v67, v21, 0x3f4178ce, v66
	v_fmac_f32_e32 v66, 0xbf4178ce, v21
	v_add_f32_e32 v5, v67, v5
	v_mul_f32_e32 v67, 0x3f7d64f0, v12
	v_mul_f32_e32 v12, 0x3f0a6770, v12
	ds_store_2addr_b64 v40, v[2:3], v[4:5] offset0:200 offset1:251
	v_mul_f32_e32 v40, 0xbf4178ce, v8
	v_fmamk_f32 v3, v17, 0xbe11bafb, v67
	v_fmamk_f32 v4, v13, 0xbf7d64f0, v70
	v_mul_f32_e32 v8, 0xbe903f40, v8
	v_fmamk_f32 v5, v17, 0x3f575c64, v12
	v_fmamk_f32 v2, v10, 0xbf27a4f4, v40
	v_fmac_f32_e32 v70, 0x3f7d64f0, v13
	s_delay_alu instid0(VALU_DEP_2) | instskip(NEXT) | instid1(VALU_DEP_1)
	v_add_f32_e32 v2, v0, v2
	v_add_f32_e32 v2, v3, v2
	v_fmamk_f32 v3, v11, 0x3f4178ce, v69
	v_fmac_f32_e32 v69, 0xbf4178ce, v11
	v_mul_f32_e32 v71, 0xbf0a6770, v34
	s_delay_alu instid0(VALU_DEP_3) | instskip(NEXT) | instid1(VALU_DEP_1)
	v_dual_mul_f32 v34, 0xbf4178ce, v34 :: v_dual_add_f32 v3, v1, v3
	v_dual_add_f32 v3, v4, v3 :: v_dual_fmamk_f32 v4, v33, 0x3f575c64, v71
	s_delay_alu instid0(VALU_DEP_1) | instskip(SKIP_2) | instid1(VALU_DEP_2)
	v_add_f32_e32 v2, v4, v2
	v_fmamk_f32 v4, v19, 0x3f0a6770, v72
	v_fmac_f32_e32 v72, 0xbf0a6770, v19
	v_dual_add_f32 v3, v4, v3 :: v_dual_fmamk_f32 v4, v27, 0xbf75a155, v73
	s_delay_alu instid0(VALU_DEP_1) | instskip(SKIP_1) | instid1(VALU_DEP_1)
	v_add_f32_e32 v2, v4, v2
	v_fmamk_f32 v4, v14, 0x3e903f40, v74
	v_dual_fmac_f32 v74, 0xbe903f40, v14 :: v_dual_add_f32 v3, v4, v3
	v_fmamk_f32 v4, v25, 0x3ed4b147, v75
	s_delay_alu instid0(VALU_DEP_1) | instskip(SKIP_1) | instid1(VALU_DEP_1)
	v_add_f32_e32 v2, v4, v2
	v_fmamk_f32 v4, v21, 0xbf68dda4, v76
	v_dual_fmac_f32 v76, 0x3f68dda4, v21 :: v_dual_add_f32 v3, v4, v3
	v_fmamk_f32 v4, v10, 0xbf75a155, v8
	s_delay_alu instid0(VALU_DEP_1) | instskip(NEXT) | instid1(VALU_DEP_1)
	v_add_f32_e32 v4, v0, v4
	v_dual_add_f32 v4, v5, v4 :: v_dual_fmamk_f32 v5, v11, 0x3e903f40, v9
	v_fmac_f32_e32 v9, 0xbe903f40, v11
	s_delay_alu instid0(VALU_DEP_2) | instskip(NEXT) | instid1(VALU_DEP_1)
	v_dual_mul_f32 v36, 0x3f68dda4, v36 :: v_dual_add_f32 v5, v1, v5
	v_add_f32_e32 v5, v77, v5
	v_fmamk_f32 v77, v33, 0xbf27a4f4, v34
	s_delay_alu instid0(VALU_DEP_1) | instskip(NEXT) | instid1(VALU_DEP_1)
	v_dual_add_f32 v4, v77, v4 :: v_dual_fmamk_f32 v77, v19, 0x3f4178ce, v20
	v_dual_fmac_f32 v20, 0xbf4178ce, v19 :: v_dual_add_f32 v5, v77, v5
	v_fmamk_f32 v77, v27, 0x3ed4b147, v36
	s_delay_alu instid0(VALU_DEP_1) | instskip(NEXT) | instid1(VALU_DEP_1)
	v_dual_add_f32 v4, v77, v4 :: v_dual_fmamk_f32 v77, v14, 0xbf68dda4, v18
	v_dual_fmac_f32 v18, 0x3f68dda4, v14 :: v_dual_add_f32 v5, v77, v5
	v_fmamk_f32 v77, v25, 0xbe11bafb, v38
	s_delay_alu instid0(VALU_DEP_1) | instskip(SKIP_2) | instid1(VALU_DEP_2)
	v_add_f32_e32 v4, v77, v4
	v_fmamk_f32 v77, v21, 0x3f7d64f0, v24
	v_fmac_f32_e32 v24, 0xbf7d64f0, v21
	v_add_f32_e32 v5, v77, v5
	v_add_nc_u32_e32 v77, 0x2800, v79
	ds_store_2addr_b64 v77, v[2:3], v[4:5] offset0:46 offset1:97
	v_fma_f32 v2, 0xbf27a4f4, v10, -v40
	v_fma_f32 v3, 0xbe11bafb, v17, -v67
	;; [unrolled: 1-line block ×4, first 2 shown]
	s_delay_alu instid0(VALU_DEP_4) | instskip(NEXT) | instid1(VALU_DEP_1)
	v_add_f32_e32 v2, v0, v2
	v_dual_add_f32 v2, v3, v2 :: v_dual_add_f32 v3, v1, v69
	s_delay_alu instid0(VALU_DEP_1) | instskip(SKIP_1) | instid1(VALU_DEP_3)
	v_add_f32_e32 v2, v4, v2
	v_fma_f32 v4, 0xbf75a155, v27, -v73
	v_add_f32_e32 v3, v70, v3
	v_fmac_f32_e32 v30, 0xbf0a6770, v11
	s_delay_alu instid0(VALU_DEP_3) | instskip(SKIP_1) | instid1(VALU_DEP_4)
	v_add_f32_e32 v2, v4, v2
	v_fma_f32 v4, 0x3ed4b147, v25, -v75
	v_add_f32_e32 v3, v72, v3
	s_delay_alu instid0(VALU_DEP_2) | instskip(SKIP_2) | instid1(VALU_DEP_2)
	v_add_f32_e32 v2, v4, v2
	v_fma_f32 v4, 0xbf75a155, v10, -v8
	v_fma_f32 v8, 0xbf27a4f4, v33, -v34
	v_dual_add_f32 v3, v74, v3 :: v_dual_add_f32 v4, v0, v4
	s_delay_alu instid0(VALU_DEP_1) | instskip(NEXT) | instid1(VALU_DEP_1)
	v_dual_add_f32 v3, v76, v3 :: v_dual_add_f32 v4, v5, v4
	v_dual_add_f32 v5, v1, v9 :: v_dual_add_f32 v4, v8, v4
	s_delay_alu instid0(VALU_DEP_1) | instskip(SKIP_1) | instid1(VALU_DEP_2)
	v_add_f32_e32 v5, v15, v5
	v_fma_f32 v8, 0x3ed4b147, v27, -v36
	v_add_f32_e32 v5, v20, v5
	s_delay_alu instid0(VALU_DEP_2) | instskip(SKIP_1) | instid1(VALU_DEP_1)
	v_add_f32_e32 v4, v8, v4
	v_fma_f32 v8, 0xbe11bafb, v25, -v38
	v_dual_add_f32 v5, v18, v5 :: v_dual_add_f32 v4, v8, v4
	v_fma_f32 v8, 0x3ed4b147, v33, -v60
	s_delay_alu instid0(VALU_DEP_2)
	v_add_f32_e32 v5, v24, v5
	ds_store_2addr_b64 v77, v[4:5], v[2:3] offset0:148 offset1:199
	v_fma_f32 v2, 0x3ed4b147, v10, -v41
	v_fma_f32 v3, 0xbf27a4f4, v17, -v42
	;; [unrolled: 1-line block ×4, first 2 shown]
	s_delay_alu instid0(VALU_DEP_4) | instskip(NEXT) | instid1(VALU_DEP_1)
	v_add_f32_e32 v2, v0, v2
	v_dual_add_f32 v2, v3, v2 :: v_dual_add_f32 v3, v1, v43
	s_delay_alu instid0(VALU_DEP_1) | instskip(SKIP_1) | instid1(VALU_DEP_1)
	v_add_f32_e32 v2, v4, v2
	v_fma_f32 v4, 0xbe11bafb, v27, -v52
	v_dual_add_f32 v3, v45, v3 :: v_dual_add_f32 v2, v4, v2
	v_fma_f32 v4, 0x3f575c64, v25, -v54
	s_delay_alu instid0(VALU_DEP_1) | instskip(SKIP_1) | instid1(VALU_DEP_1)
	v_dual_add_f32 v3, v47, v3 :: v_dual_add_f32 v2, v4, v2
	v_fma_f32 v4, 0xbe11bafb, v10, -v56
	v_dual_add_f32 v3, v53, v3 :: v_dual_add_f32 v4, v0, v4
	s_delay_alu instid0(VALU_DEP_1) | instskip(SKIP_1) | instid1(VALU_DEP_2)
	v_dual_add_f32 v3, v55, v3 :: v_dual_add_f32 v4, v5, v4
	v_add_f32_e32 v5, v1, v58
	v_dual_add_f32 v1, v1, v30 :: v_dual_add_f32 v4, v8, v4
	s_delay_alu instid0(VALU_DEP_2) | instskip(SKIP_1) | instid1(VALU_DEP_1)
	v_add_f32_e32 v5, v59, v5
	v_fma_f32 v8, 0x3f575c64, v27, -v63
	v_dual_add_f32 v5, v61, v5 :: v_dual_add_f32 v4, v8, v4
	v_fma_f32 v8, 0xbf27a4f4, v25, -v65
	s_delay_alu instid0(VALU_DEP_2) | instskip(NEXT) | instid1(VALU_DEP_2)
	v_add_f32_e32 v5, v64, v5
	v_add_f32_e32 v4, v8, v4
	s_delay_alu instid0(VALU_DEP_2) | instskip(SKIP_2) | instid1(VALU_DEP_1)
	v_dual_add_f32 v5, v66, v5 :: v_dual_add_nc_u32 v8, 0x2c00, v79
	ds_store_2addr_b64 v8, v[4:5], v[2:3] offset0:122 offset1:173
	v_fma_f32 v2, 0x3f575c64, v10, -v28
	v_add_f32_e32 v0, v0, v2
	v_fma_f32 v2, 0x3ed4b147, v17, -v29
	s_delay_alu instid0(VALU_DEP_1) | instskip(SKIP_1) | instid1(VALU_DEP_1)
	v_dual_add_f32 v0, v2, v0 :: v_dual_add_f32 v1, v31, v1
	v_fma_f32 v2, 0xbe11bafb, v33, -v32
	v_dual_add_f32 v1, v35, v1 :: v_dual_add_f32 v0, v2, v0
	v_fma_f32 v2, 0xbf27a4f4, v27, -v26
	s_delay_alu instid0(VALU_DEP_1) | instskip(SKIP_1) | instid1(VALU_DEP_1)
	v_dual_add_f32 v0, v2, v0 :: v_dual_add_f32 v1, v37, v1
	v_fma_f32 v2, 0xbf75a155, v25, -v23
	v_dual_add_f32 v0, v2, v0 :: v_dual_add_f32 v1, v39, v1
	ds_store_b64 v79, v[0:1] offset:13056
	s_waitcnt lgkmcnt(0)
	s_barrier
	buffer_gl0_inv
	ds_load_b64 v[0:1], v244 offset:13056
	ds_load_2addr_b64 v[28:31], v244 offset1:51
	s_waitcnt lgkmcnt(1)
	v_mul_f32_e32 v4, v127, v1
	s_delay_alu instid0(VALU_DEP_1) | instskip(SKIP_1) | instid1(VALU_DEP_1)
	v_fmac_f32_e32 v4, v126, v0
	v_mul_f32_e32 v0, v127, v0
	v_fma_f32 v8, v126, v1, -v0
	ds_load_2addr_b64 v[0:3], v78 offset0:124 offset1:175
	s_waitcnt lgkmcnt(0)
	v_mul_f32_e32 v5, v125, v3
	v_mul_f32_e32 v21, v121, v1
	s_delay_alu instid0(VALU_DEP_2) | instskip(NEXT) | instid1(VALU_DEP_2)
	v_fmac_f32_e32 v5, v124, v2
	v_dual_mul_f32 v2, v125, v2 :: v_dual_fmac_f32 v21, v120, v0
	v_mul_f32_e32 v0, v121, v0
	s_delay_alu instid0(VALU_DEP_2) | instskip(NEXT) | instid1(VALU_DEP_2)
	v_fma_f32 v9, v124, v3, -v2
	v_fma_f32 v23, v120, v1, -v0
	ds_load_2addr_b64 v[0:3], v68 offset0:122 offset1:173
	s_waitcnt lgkmcnt(0)
	v_mul_f32_e32 v10, v123, v3
	v_mul_f32_e32 v12, v119, v1
	s_delay_alu instid0(VALU_DEP_2) | instskip(SKIP_1) | instid1(VALU_DEP_3)
	v_fmac_f32_e32 v10, v122, v2
	v_mul_f32_e32 v2, v123, v2
	v_fmac_f32_e32 v12, v118, v0
	v_mul_f32_e32 v0, v119, v0
	s_delay_alu instid0(VALU_DEP_3) | instskip(NEXT) | instid1(VALU_DEP_2)
	v_fma_f32 v11, v122, v3, -v2
	v_fma_f32 v13, v118, v1, -v0
	ds_load_2addr_b64 v[0:3], v62 offset0:150 offset1:201
	s_waitcnt lgkmcnt(0)
	v_mul_f32_e32 v19, v117, v3
	s_delay_alu instid0(VALU_DEP_1) | instskip(SKIP_1) | instid1(VALU_DEP_2)
	v_dual_mul_f32 v52, v113, v1 :: v_dual_fmac_f32 v19, v116, v2
	v_mul_f32_e32 v2, v117, v2
	v_fmac_f32_e32 v52, v112, v0
	v_mul_f32_e32 v0, v113, v0
	s_delay_alu instid0(VALU_DEP_3) | instskip(NEXT) | instid1(VALU_DEP_2)
	v_fma_f32 v20, v116, v3, -v2
	v_fma_f32 v47, v112, v1, -v0
	ds_load_2addr_b64 v[0:3], v44 offset0:148 offset1:199
	s_waitcnt lgkmcnt(0)
	v_mul_f32_e32 v14, v115, v3
	s_delay_alu instid0(VALU_DEP_1) | instskip(NEXT) | instid1(VALU_DEP_1)
	v_dual_mul_f32 v17, v111, v1 :: v_dual_fmac_f32 v14, v114, v2
	v_dual_mul_f32 v2, v115, v2 :: v_dual_fmac_f32 v17, v110, v0
	v_mul_f32_e32 v0, v111, v0
	s_delay_alu instid0(VALU_DEP_2) | instskip(NEXT) | instid1(VALU_DEP_2)
	v_fma_f32 v15, v114, v3, -v2
	v_fma_f32 v18, v110, v1, -v0
	ds_load_2addr_b64 v[0:3], v62 offset0:48 offset1:99
	s_waitcnt lgkmcnt(0)
	v_mul_f32_e32 v53, v109, v3
	v_mul_f32_e32 v43, v105, v1
	s_delay_alu instid0(VALU_DEP_2) | instskip(NEXT) | instid1(VALU_DEP_2)
	v_fmac_f32_e32 v53, v108, v2
	v_dual_mul_f32 v2, v109, v2 :: v_dual_fmac_f32 v43, v104, v0
	v_mul_f32_e32 v0, v105, v0
	s_delay_alu instid0(VALU_DEP_2) | instskip(NEXT) | instid1(VALU_DEP_2)
	v_fma_f32 v54, v108, v3, -v2
	v_fma_f32 v42, v104, v1, -v0
	ds_load_2addr_b64 v[0:3], v44 offset0:46 offset1:97
	s_waitcnt lgkmcnt(0)
	v_mul_f32_e32 v24, v107, v3
	v_mul_f32_e32 v26, v103, v1
	s_delay_alu instid0(VALU_DEP_2) | instskip(SKIP_1) | instid1(VALU_DEP_3)
	v_fmac_f32_e32 v24, v106, v2
	v_mul_f32_e32 v2, v107, v2
	v_fmac_f32_e32 v26, v102, v0
	v_mul_f32_e32 v0, v103, v0
	s_delay_alu instid0(VALU_DEP_3) | instskip(NEXT) | instid1(VALU_DEP_2)
	v_fma_f32 v25, v106, v3, -v2
	v_fma_f32 v27, v102, v1, -v0
	ds_load_2addr_b64 v[0:3], v22 offset0:202 offset1:253
	s_waitcnt lgkmcnt(0)
	v_mul_f32_e32 v45, v101, v3
	v_mul_f32_e32 v39, v97, v1
	s_delay_alu instid0(VALU_DEP_2) | instskip(NEXT) | instid1(VALU_DEP_2)
	v_fmac_f32_e32 v45, v100, v2
	v_dual_mul_f32 v2, v101, v2 :: v_dual_fmac_f32 v39, v96, v0
	v_mul_f32_e32 v0, v97, v0
	s_delay_alu instid0(VALU_DEP_2) | instskip(NEXT) | instid1(VALU_DEP_2)
	v_fma_f32 v46, v100, v3, -v2
	v_fma_f32 v38, v96, v1, -v0
	ds_load_2addr_b64 v[0:3], v16 offset0:200 offset1:251
	s_waitcnt lgkmcnt(0)
	v_mul_f32_e32 v55, v99, v3
	v_mul_f32_e32 v57, v95, v1
	s_delay_alu instid0(VALU_DEP_2) | instskip(NEXT) | instid1(VALU_DEP_2)
	v_fmac_f32_e32 v55, v98, v2
	v_dual_mul_f32 v2, v99, v2 :: v_dual_fmac_f32 v57, v94, v0
	v_mul_f32_e32 v0, v95, v0
	s_delay_alu instid0(VALU_DEP_2) | instskip(NEXT) | instid1(VALU_DEP_2)
	v_fma_f32 v56, v98, v3, -v2
	v_fma_f32 v58, v94, v1, -v0
	ds_load_2addr_b64 v[0:3], v22 offset0:100 offset1:151
	s_waitcnt lgkmcnt(0)
	v_mul_f32_e32 v40, v93, v3
	s_delay_alu instid0(VALU_DEP_1) | instskip(NEXT) | instid1(VALU_DEP_1)
	v_dual_mul_f32 v35, v85, v1 :: v_dual_fmac_f32 v40, v92, v2
	v_dual_mul_f32 v2, v93, v2 :: v_dual_fmac_f32 v35, v84, v0
	v_mul_f32_e32 v0, v85, v0
	s_delay_alu instid0(VALU_DEP_2) | instskip(NEXT) | instid1(VALU_DEP_3)
	v_fma_f32 v41, v92, v3, -v2
	v_add_f32_e32 v64, v30, v35
	s_delay_alu instid0(VALU_DEP_3)
	v_fma_f32 v34, v84, v1, -v0
	ds_load_2addr_b64 v[0:3], v16 offset0:98 offset1:149
	v_add_f32_e32 v65, v31, v34
	s_waitcnt lgkmcnt(0)
	v_mul_f32_e32 v59, v87, v3
	v_mul_f32_e32 v61, v51, v1
	s_delay_alu instid0(VALU_DEP_2) | instskip(NEXT) | instid1(VALU_DEP_2)
	v_fmac_f32_e32 v59, v86, v2
	v_dual_mul_f32 v2, v87, v2 :: v_dual_fmac_f32 v61, v50, v0
	v_mul_f32_e32 v0, v51, v0
	v_sub_f32_e32 v51, v19, v12
	s_delay_alu instid0(VALU_DEP_3) | instskip(NEXT) | instid1(VALU_DEP_3)
	v_fma_f32 v60, v86, v3, -v2
	v_fma_f32 v63, v50, v1, -v0
	ds_load_2addr_b64 v[0:3], v6 offset0:126 offset1:177
	v_sub_f32_e32 v50, v20, v13
	s_waitcnt lgkmcnt(0)
	v_mul_f32_e32 v36, v49, v3
	s_delay_alu instid0(VALU_DEP_1) | instskip(SKIP_2) | instid1(VALU_DEP_3)
	v_fmac_f32_e32 v36, v48, v2
	v_mul_f32_e32 v2, v49, v2
	v_sub_f32_e32 v49, v52, v14
	v_add_f32_e32 v66, v28, v36
	s_delay_alu instid0(VALU_DEP_3) | instskip(SKIP_1) | instid1(VALU_DEP_2)
	v_fma_f32 v37, v48, v3, -v2
	v_add_f32_e32 v2, v36, v61
	v_dual_sub_f32 v48, v36, v61 :: v_dual_add_f32 v3, v37, v63
	s_delay_alu instid0(VALU_DEP_2) | instskip(SKIP_4) | instid1(VALU_DEP_4)
	v_fma_f32 v2, -0.5, v2, v28
	v_sub_f32_e32 v33, v37, v63
	v_add_f32_e32 v67, v29, v37
	v_sub_f32_e32 v37, v41, v58
	v_fma_f32 v3, -0.5, v3, v29
	v_fmamk_f32 v32, v33, 0xbf5db3d7, v2
	s_delay_alu instid0(VALU_DEP_2) | instskip(SKIP_1) | instid1(VALU_DEP_1)
	v_dual_fmac_f32 v2, 0x3f5db3d7, v33 :: v_dual_fmamk_f32 v33, v48, 0x3f5db3d7, v3
	v_dual_fmac_f32 v3, 0xbf5db3d7, v48 :: v_dual_add_f32 v48, v35, v59
	v_fma_f32 v30, -0.5, v48, v30
	v_add_f32_e32 v48, v34, v60
	s_delay_alu instid0(VALU_DEP_1) | instskip(SKIP_1) | instid1(VALU_DEP_1)
	v_fmac_f32_e32 v31, -0.5, v48
	v_sub_f32_e32 v48, v34, v60
	v_fmamk_f32 v34, v48, 0xbf5db3d7, v30
	v_fmac_f32_e32 v30, 0x3f5db3d7, v48
	v_sub_f32_e32 v48, v35, v59
	s_delay_alu instid0(VALU_DEP_1)
	v_fmamk_f32 v35, v48, 0x3f5db3d7, v31
	v_dual_fmac_f32 v31, 0xbf5db3d7, v48 :: v_dual_sub_f32 v48, v40, v57
	ds_store_2addr_b64 v16, v[2:3], v[30:31] offset0:98 offset1:149
	ds_load_2addr_b64 v[28:31], v244 offset0:102 offset1:153
	v_dual_add_f32 v2, v40, v57 :: v_dual_add_f32 v3, v41, v58
	s_waitcnt lgkmcnt(0)
	s_delay_alu instid0(VALU_DEP_1) | instskip(NEXT) | instid1(VALU_DEP_2)
	v_fma_f32 v2, -0.5, v2, v28
	v_fma_f32 v3, -0.5, v3, v29
	v_dual_add_f32 v69, v30, v39 :: v_dual_add_f32 v70, v31, v38
	s_delay_alu instid0(VALU_DEP_3) | instskip(NEXT) | instid1(VALU_DEP_3)
	v_dual_add_f32 v71, v28, v40 :: v_dual_fmamk_f32 v36, v37, 0xbf5db3d7, v2
	v_dual_fmac_f32 v2, 0x3f5db3d7, v37 :: v_dual_fmamk_f32 v37, v48, 0x3f5db3d7, v3
	v_dual_fmac_f32 v3, 0xbf5db3d7, v48 :: v_dual_add_f32 v48, v39, v55
	v_dual_add_f32 v72, v29, v41 :: v_dual_sub_f32 v41, v46, v27
	s_delay_alu instid0(VALU_DEP_2) | instskip(SKIP_1) | instid1(VALU_DEP_1)
	v_fma_f32 v30, -0.5, v48, v30
	v_add_f32_e32 v48, v38, v56
	v_fmac_f32_e32 v31, -0.5, v48
	v_sub_f32_e32 v48, v38, v56
	s_delay_alu instid0(VALU_DEP_1) | instskip(SKIP_2) | instid1(VALU_DEP_1)
	v_fmamk_f32 v38, v48, 0xbf5db3d7, v30
	v_fmac_f32_e32 v30, 0x3f5db3d7, v48
	v_sub_f32_e32 v48, v39, v55
	v_fmamk_f32 v39, v48, 0x3f5db3d7, v31
	v_dual_fmac_f32 v31, 0xbf5db3d7, v48 :: v_dual_sub_f32 v48, v45, v26
	ds_store_2addr_b64 v16, v[2:3], v[30:31] offset0:200 offset1:251
	ds_load_2addr_b64 v[28:31], v244 offset0:204 offset1:255
	v_dual_add_f32 v2, v45, v26 :: v_dual_add_f32 v3, v46, v27
	s_waitcnt lgkmcnt(0)
	s_delay_alu instid0(VALU_DEP_1) | instskip(NEXT) | instid1(VALU_DEP_2)
	v_fma_f32 v2, -0.5, v2, v28
	v_fma_f32 v3, -0.5, v3, v29
	v_dual_add_f32 v73, v30, v43 :: v_dual_add_f32 v74, v31, v42
	s_delay_alu instid0(VALU_DEP_3) | instskip(NEXT) | instid1(VALU_DEP_3)
	v_dual_add_f32 v75, v28, v45 :: v_dual_fmamk_f32 v40, v41, 0xbf5db3d7, v2
	v_dual_fmac_f32 v2, 0x3f5db3d7, v41 :: v_dual_fmamk_f32 v41, v48, 0x3f5db3d7, v3
	v_fmac_f32_e32 v3, 0xbf5db3d7, v48
	v_add_f32_e32 v48, v43, v24
	v_add_f32_e32 v76, v29, v46
	v_sub_f32_e32 v46, v54, v18
	s_delay_alu instid0(VALU_DEP_3) | instskip(SKIP_1) | instid1(VALU_DEP_1)
	v_fma_f32 v30, -0.5, v48, v30
	v_add_f32_e32 v48, v42, v25
	v_dual_fmac_f32 v31, -0.5, v48 :: v_dual_sub_f32 v48, v42, v25
	s_delay_alu instid0(VALU_DEP_1) | instskip(SKIP_2) | instid1(VALU_DEP_1)
	v_fmamk_f32 v42, v48, 0xbf5db3d7, v30
	v_fmac_f32_e32 v30, 0x3f5db3d7, v48
	v_sub_f32_e32 v48, v43, v24
	v_fmamk_f32 v43, v48, 0x3f5db3d7, v31
	v_dual_fmac_f32 v31, 0xbf5db3d7, v48 :: v_dual_sub_f32 v48, v53, v17
	ds_store_2addr_b64 v44, v[2:3], v[30:31] offset0:46 offset1:97
	ds_load_2addr_b64 v[28:31], v7 offset0:50 offset1:101
	v_dual_add_f32 v2, v53, v17 :: v_dual_add_f32 v3, v54, v18
	s_waitcnt lgkmcnt(0)
	s_delay_alu instid0(VALU_DEP_1) | instskip(NEXT) | instid1(VALU_DEP_2)
	v_fma_f32 v2, -0.5, v2, v28
	v_fma_f32 v3, -0.5, v3, v29
	v_add_f32_e32 v77, v30, v52
	v_add_f32_e32 v79, v31, v47
	;; [unrolled: 1-line block ×3, first 2 shown]
	v_fmamk_f32 v45, v46, 0xbf5db3d7, v2
	v_fmac_f32_e32 v2, 0x3f5db3d7, v46
	v_fmamk_f32 v46, v48, 0x3f5db3d7, v3
	v_dual_fmac_f32 v3, 0xbf5db3d7, v48 :: v_dual_add_f32 v48, v52, v14
	v_add_f32_e32 v54, v29, v54
	v_add_f32_e32 v14, v77, v14
	s_delay_alu instid0(VALU_DEP_3) | instskip(SKIP_1) | instid1(VALU_DEP_1)
	v_fma_f32 v30, -0.5, v48, v30
	v_add_f32_e32 v48, v47, v15
	v_dual_fmac_f32 v31, -0.5, v48 :: v_dual_sub_f32 v48, v47, v15
	v_add_f32_e32 v15, v79, v15
	s_delay_alu instid0(VALU_DEP_2) | instskip(SKIP_1) | instid1(VALU_DEP_4)
	v_fmamk_f32 v47, v48, 0xbf5db3d7, v30
	v_fmac_f32_e32 v30, 0x3f5db3d7, v48
	v_fmamk_f32 v48, v49, 0x3f5db3d7, v31
	v_fmac_f32_e32 v31, 0xbf5db3d7, v49
	ds_store_2addr_b64 v44, v[2:3], v[30:31] offset0:148 offset1:199
	ds_load_2addr_b64 v[28:31], v7 offset0:152 offset1:203
	v_dual_add_f32 v2, v19, v12 :: v_dual_add_f32 v3, v20, v13
	s_waitcnt lgkmcnt(0)
	s_delay_alu instid0(VALU_DEP_1) | instskip(NEXT) | instid1(VALU_DEP_2)
	v_fma_f32 v2, -0.5, v2, v28
	v_fma_f32 v3, -0.5, v3, v29
	v_dual_add_f32 v80, v30, v21 :: v_dual_add_f32 v81, v31, v23
	s_delay_alu instid0(VALU_DEP_3) | instskip(SKIP_1) | instid1(VALU_DEP_4)
	v_fmamk_f32 v49, v50, 0xbf5db3d7, v2
	v_fmac_f32_e32 v2, 0x3f5db3d7, v50
	v_fmamk_f32 v50, v51, 0x3f5db3d7, v3
	v_fmac_f32_e32 v3, 0xbf5db3d7, v51
	v_add_f32_e32 v51, v21, v10
	v_sub_f32_e32 v21, v21, v10
	v_add_f32_e32 v10, v80, v10
	s_delay_alu instid0(VALU_DEP_3) | instskip(SKIP_3) | instid1(VALU_DEP_3)
	v_fma_f32 v30, -0.5, v51, v30
	v_add_f32_e32 v51, v23, v11
	v_sub_f32_e32 v23, v23, v11
	v_add_f32_e32 v11, v81, v11
	v_fmac_f32_e32 v31, -0.5, v51
	s_delay_alu instid0(VALU_DEP_3) | instskip(SKIP_2) | instid1(VALU_DEP_4)
	v_fmamk_f32 v51, v23, 0xbf5db3d7, v30
	v_dual_fmac_f32 v30, 0x3f5db3d7, v23 :: v_dual_add_f32 v23, v29, v20
	v_add_f32_e32 v20, v65, v60
	v_fmamk_f32 v52, v21, 0x3f5db3d7, v31
	v_fmac_f32_e32 v31, 0xbf5db3d7, v21
	v_add_f32_e32 v21, v28, v19
	v_add_f32_e32 v19, v64, v59
	ds_store_2addr_b64 v68, v[2:3], v[30:31] offset0:122 offset1:173
	v_dual_add_f32 v2, v66, v61 :: v_dual_add_f32 v3, v67, v63
	ds_store_2addr_b64 v244, v[2:3], v[19:20] offset1:51
	ds_store_2addr_b64 v22, v[34:35], v[36:37] offset0:100 offset1:151
	v_dual_add_f32 v2, v71, v57 :: v_dual_add_f32 v3, v72, v58
	v_dual_add_f32 v19, v69, v55 :: v_dual_add_f32 v20, v70, v56
	ds_store_2addr_b64 v244, v[2:3], v[19:20] offset0:102 offset1:153
	ds_store_2addr_b64 v22, v[38:39], v[40:41] offset0:202 offset1:253
	v_dual_add_f32 v2, v75, v26 :: v_dual_add_f32 v3, v76, v27
	v_dual_add_f32 v19, v73, v24 :: v_dual_add_f32 v20, v74, v25
	ds_store_2addr_b64 v244, v[2:3], v[19:20] offset0:204 offset1:255
	ds_store_2addr_b64 v62, v[42:43], v[45:46] offset0:48 offset1:99
	v_dual_add_f32 v2, v53, v17 :: v_dual_add_f32 v3, v54, v18
	ds_store_2addr_b64 v7, v[2:3], v[14:15] offset0:50 offset1:101
	ds_store_2addr_b64 v62, v[47:48], v[49:50] offset0:150 offset1:201
	v_dual_add_f32 v3, v23, v13 :: v_dual_add_f32 v2, v21, v12
	ds_store_2addr_b64 v7, v[2:3], v[10:11] offset0:152 offset1:203
	v_add_f32_e32 v2, v0, v5
	s_delay_alu instid0(VALU_DEP_1) | instskip(NEXT) | instid1(VALU_DEP_1)
	v_dual_add_f32 v3, v1, v9 :: v_dual_add_f32 v2, v2, v4
	v_add_f32_e32 v3, v3, v8
	ds_store_2addr_b64 v6, v[2:3], v[32:33] offset0:126 offset1:177
	v_add_f32_e32 v2, v5, v4
	v_sub_f32_e32 v4, v5, v4
	s_delay_alu instid0(VALU_DEP_2) | instskip(SKIP_1) | instid1(VALU_DEP_1)
	v_fma_f32 v0, -0.5, v2, v0
	v_add_f32_e32 v2, v9, v8
	v_dual_sub_f32 v8, v9, v8 :: v_dual_fmac_f32 v1, -0.5, v2
	s_delay_alu instid0(VALU_DEP_1) | instskip(NEXT) | instid1(VALU_DEP_2)
	v_fmamk_f32 v2, v8, 0xbf5db3d7, v0
	v_dual_fmac_f32 v0, 0x3f5db3d7, v8 :: v_dual_fmamk_f32 v3, v4, 0x3f5db3d7, v1
	v_fmac_f32_e32 v1, 0xbf5db3d7, v4
	ds_store_2addr_b64 v78, v[51:52], v[2:3] offset0:124 offset1:175
	ds_store_b64 v244, v[0:1] offset:13056
	s_waitcnt lgkmcnt(0)
	s_barrier
	buffer_gl0_inv
	scratch_load_b64 v[8:9], off, off offset:124 ; 8-byte Folded Reload
	ds_load_2addr_b64 v[1:4], v244 offset1:99
	s_waitcnt vmcnt(0) lgkmcnt(0)
	v_mul_f32_e32 v0, v9, v2
	s_delay_alu instid0(VALU_DEP_1) | instskip(SKIP_1) | instid1(VALU_DEP_1)
	v_fmac_f32_e32 v0, v8, v1
	v_mul_f32_e32 v1, v9, v1
	v_fma_f32 v12, v8, v2, -v1
	scratch_load_b64 v[8:9], off, off offset:132 ; 8-byte Folded Reload
	v_add_nc_u32_e32 v2, 0x400, v244
	s_waitcnt vmcnt(0)
	v_mul_f32_e32 v13, v9, v4
	v_mul_f32_e32 v1, v9, v3
	s_delay_alu instid0(VALU_DEP_2) | instskip(NEXT) | instid1(VALU_DEP_2)
	v_fmac_f32_e32 v13, v8, v3
	v_fma_f32 v14, v8, v4, -v1
	scratch_load_b64 v[3:4], off, off offset:100 ; 8-byte Folded Reload
	ds_load_2addr_b64 v[8:11], v2 offset0:70 offset1:169
	s_waitcnt vmcnt(0) lgkmcnt(0)
	v_mul_f32_e32 v15, v4, v9
	v_mul_f32_e32 v1, v4, v8
	s_delay_alu instid0(VALU_DEP_2) | instskip(NEXT) | instid1(VALU_DEP_2)
	v_fmac_f32_e32 v15, v3, v8
	v_fma_f32 v17, v3, v9, -v1
	scratch_load_b64 v[3:4], off, off offset:108 ; 8-byte Folded Reload
	s_waitcnt vmcnt(0)
	v_mul_f32_e32 v18, v4, v11
	v_mul_f32_e32 v1, v4, v10
	s_delay_alu instid0(VALU_DEP_2) | instskip(NEXT) | instid1(VALU_DEP_2)
	v_fmac_f32_e32 v18, v3, v10
	v_fma_f32 v19, v3, v11, -v1
	scratch_load_b64 v[3:4], off, off offset:84 ; 8-byte Folded Reload
	ds_load_2addr_b64 v[7:10], v7 offset0:140 offset1:239
	scratch_load_b32 v11, off, off          ; 4-byte Folded Reload
	s_waitcnt vmcnt(1) lgkmcnt(0)
	v_mul_f32_e32 v20, v4, v8
	v_mul_f32_e32 v1, v4, v7
	s_delay_alu instid0(VALU_DEP_2) | instskip(NEXT) | instid1(VALU_DEP_2)
	v_fmac_f32_e32 v20, v3, v7
	v_fma_f32 v21, v3, v8, -v1
	scratch_load_b64 v[3:4], off, off offset:92 ; 8-byte Folded Reload
	s_waitcnt vmcnt(0)
	v_mul_f32_e32 v23, v4, v10
	v_mul_f32_e32 v1, v4, v9
	s_delay_alu instid0(VALU_DEP_2) | instskip(NEXT) | instid1(VALU_DEP_2)
	v_fmac_f32_e32 v23, v3, v9
	v_fma_f32 v24, v3, v10, -v1
	scratch_load_b64 v[3:4], off, off offset:140 ; 8-byte Folded Reload
	ds_load_2addr_b64 v[7:10], v22 offset0:82 offset1:181
	s_waitcnt vmcnt(0) lgkmcnt(0)
	v_mul_f32_e32 v25, v4, v8
	v_mul_f32_e32 v1, v4, v7
	s_delay_alu instid0(VALU_DEP_2) | instskip(NEXT) | instid1(VALU_DEP_2)
	v_fmac_f32_e32 v25, v3, v7
	v_fma_f32 v26, v3, v8, -v1
	scratch_load_b64 v[3:4], off, off offset:116 ; 8-byte Folded Reload
	s_waitcnt vmcnt(0)
	v_mul_f32_e32 v27, v4, v10
	v_mul_f32_e32 v1, v4, v9
	s_delay_alu instid0(VALU_DEP_2) | instskip(NEXT) | instid1(VALU_DEP_2)
	v_fmac_f32_e32 v27, v3, v9
	v_fma_f32 v28, v3, v10, -v1
	scratch_load_b64 v[3:4], off, off offset:76 ; 8-byte Folded Reload
	ds_load_2addr_b64 v[7:10], v62 offset0:24 offset1:123
	;; [unrolled: 15-line block ×3, first 2 shown]
	s_waitcnt vmcnt(0) lgkmcnt(0)
	v_mul_f32_e32 v33, v4, v8
	v_mul_f32_e32 v1, v4, v7
	s_delay_alu instid0(VALU_DEP_2) | instskip(NEXT) | instid1(VALU_DEP_2)
	v_fmac_f32_e32 v33, v3, v7
	v_fma_f32 v34, v3, v8, -v1
	scratch_load_b64 v[3:4], off, off offset:60 ; 8-byte Folded Reload
	s_waitcnt vmcnt(0)
	v_mul_f32_e32 v35, v4, v10
	v_mul_f32_e32 v1, v4, v9
	scratch_load_b64 v[4:5], off, off offset:28 ; 8-byte Folded Reload
	v_fmac_f32_e32 v35, v3, v9
	v_fma_f32 v36, v3, v10, -v1
	v_add_nc_u32_e32 v3, 0x2400, v244
	ds_load_2addr_b64 v[7:10], v3 offset0:36 offset1:135
	s_waitcnt vmcnt(0) lgkmcnt(0)
	v_mul_f32_e32 v37, v5, v8
	v_mul_f32_e32 v1, v5, v7
	s_delay_alu instid0(VALU_DEP_2) | instskip(NEXT) | instid1(VALU_DEP_2)
	v_fmac_f32_e32 v37, v4, v7
	v_fma_f32 v38, v4, v8, -v1
	scratch_load_b64 v[4:5], off, off offset:20 ; 8-byte Folded Reload
	s_waitcnt vmcnt(0)
	v_mul_f32_e32 v39, v5, v10
	v_mul_f32_e32 v1, v5, v9
	s_delay_alu instid0(VALU_DEP_2) | instskip(NEXT) | instid1(VALU_DEP_2)
	v_fmac_f32_e32 v39, v4, v9
	v_fma_f32 v40, v4, v10, -v1
	scratch_load_b64 v[4:5], off, off offset:12 ; 8-byte Folded Reload
	ds_load_2addr_b64 v[7:10], v44 offset0:106 offset1:205
	s_waitcnt vmcnt(0) lgkmcnt(0)
	v_mul_f32_e32 v41, v5, v8
	v_mul_f32_e32 v1, v5, v7
	s_delay_alu instid0(VALU_DEP_2) | instskip(NEXT) | instid1(VALU_DEP_2)
	v_fmac_f32_e32 v41, v4, v7
	v_fma_f32 v42, v4, v8, -v1
	s_clause 0x1
	scratch_load_b64 v[4:5], off, off offset:44
	scratch_load_b64 v[7:8], off, off offset:36
	s_waitcnt vmcnt(1)
	v_mul_f32_e32 v43, v5, v10
	v_mul_f32_e32 v1, v5, v9
	s_delay_alu instid0(VALU_DEP_2) | instskip(NEXT) | instid1(VALU_DEP_2)
	v_fmac_f32_e32 v43, v4, v9
	v_fma_f32 v44, v4, v10, -v1
	ds_load_b64 v[4:5], v244 offset:12672
	s_waitcnt vmcnt(0) lgkmcnt(0)
	v_mul_f32_e32 v45, v8, v5
	v_mul_f32_e32 v1, v8, v4
	s_delay_alu instid0(VALU_DEP_2) | instskip(NEXT) | instid1(VALU_DEP_2)
	v_fmac_f32_e32 v45, v7, v4
	v_fma_f32 v46, v7, v5, -v1
	scratch_load_b64 v[4:5], off, off offset:4 ; 8-byte Folded Reload
	s_waitcnt vmcnt(0)
	v_mov_b32_e32 v9, v4
	s_delay_alu instid0(VALU_DEP_1) | instskip(NEXT) | instid1(VALU_DEP_1)
	v_mad_u64_u32 v[4:5], null, s6, v9, 0
	v_mov_b32_e32 v1, v5
	s_delay_alu instid0(VALU_DEP_1) | instskip(SKIP_2) | instid1(VALU_DEP_3)
	v_mad_u64_u32 v[7:8], null, s7, v9, v[1:2]
	v_cvt_f64_f32_e32 v[0:1], v0
	v_cvt_f64_f32_e32 v[8:9], v12
	v_mov_b32_e32 v5, v7
	s_delay_alu instid0(VALU_DEP_1) | instskip(NEXT) | instid1(VALU_DEP_1)
	v_lshlrev_b64 v[4:5], 3, v[4:5]
	v_add_co_u32 v4, s0, s10, v4
	s_delay_alu instid0(VALU_DEP_1) | instskip(SKIP_2) | instid1(VALU_DEP_2)
	v_add_co_ci_u32_e64 v5, s0, s11, v5, s0
	v_mul_f64 v[0:1], v[0:1], s[2:3]
	v_mul_f64 v[8:9], v[8:9], s[2:3]
	v_cvt_f32_f64_e32 v0, v[0:1]
	s_delay_alu instid0(VALU_DEP_2) | instskip(SKIP_1) | instid1(VALU_DEP_1)
	v_cvt_f32_f64_e32 v1, v[8:9]
	v_mad_u64_u32 v[7:8], null, s4, v11, 0
	v_mad_u64_u32 v[9:10], null, s5, v11, v[8:9]
	v_cvt_f64_f32_e32 v[11:12], v14
	s_delay_alu instid0(VALU_DEP_2) | instskip(SKIP_2) | instid1(VALU_DEP_3)
	v_mov_b32_e32 v8, v9
	v_cvt_f64_f32_e32 v[9:10], v13
	v_cvt_f64_f32_e32 v[13:14], v19
	v_lshlrev_b64 v[7:8], 3, v[7:8]
	s_delay_alu instid0(VALU_DEP_1) | instskip(NEXT) | instid1(VALU_DEP_1)
	v_add_co_u32 v7, s0, v4, v7
	v_add_co_ci_u32_e64 v8, s0, v5, v8, s0
	s_mul_i32 s0, s5, 0x63
	s_delay_alu instid0(SALU_CYCLE_1) | instskip(SKIP_1) | instid1(SALU_CYCLE_1)
	s_add_i32 s1, s1, s0
	s_mul_i32 s0, s4, 0x63
	s_lshl_b64 s[6:7], s[0:1], 3
	global_store_b64 v[7:8], v[0:1], off
	v_add_co_u32 v0, s0, v7, s6
	s_delay_alu instid0(VALU_DEP_1) | instskip(SKIP_4) | instid1(VALU_DEP_4)
	v_add_co_ci_u32_e64 v1, s0, s7, v8, s0
	v_cvt_f64_f32_e32 v[7:8], v15
	v_mul_f64 v[11:12], v[11:12], s[2:3]
	v_mul_f64 v[9:10], v[9:10], s[2:3]
	;; [unrolled: 1-line block ×4, first 2 shown]
	s_delay_alu instid0(VALU_DEP_3) | instskip(SKIP_2) | instid1(VALU_DEP_4)
	v_cvt_f32_f64_e32 v9, v[9:10]
	v_cvt_f32_f64_e32 v10, v[11:12]
	v_cvt_f64_f32_e32 v[11:12], v17
	v_cvt_f32_f64_e32 v7, v[7:8]
	global_store_b64 v[0:1], v[9:10], off
	v_mul_f64 v[11:12], v[11:12], s[2:3]
	v_cvt_f64_f32_e32 v[9:10], v23
	v_add_co_u32 v0, s0, v0, s6
	s_delay_alu instid0(VALU_DEP_1) | instskip(NEXT) | instid1(VALU_DEP_4)
	v_add_co_ci_u32_e64 v1, s0, s7, v1, s0
	v_cvt_f32_f64_e32 v8, v[11:12]
	v_cvt_f64_f32_e32 v[11:12], v18
	v_cvt_f64_f32_e32 v[17:18], v21
	v_mul_f64 v[9:10], v[9:10], s[2:3]
	global_store_b64 v[0:1], v[7:8], off
	v_mul_f64 v[11:12], v[11:12], s[2:3]
	v_mul_f64 v[17:18], v[17:18], s[2:3]
	v_cvt_f64_f32_e32 v[7:8], v25
	v_add_co_u32 v0, s0, v0, s6
	s_delay_alu instid0(VALU_DEP_1)
	v_add_co_ci_u32_e64 v1, s0, s7, v1, s0
	v_cvt_f32_f64_e32 v9, v[9:10]
	v_cvt_f32_f64_e32 v11, v[11:12]
	;; [unrolled: 1-line block ×3, first 2 shown]
	v_cvt_f64_f32_e32 v[13:14], v20
	v_cvt_f64_f32_e32 v[19:20], v26
	v_mul_f64 v[7:8], v[7:8], s[2:3]
	v_cvt_f64_f32_e32 v[25:26], v31
	global_store_b64 v[0:1], v[11:12], off
	v_mul_f64 v[13:14], v[13:14], s[2:3]
	v_mul_f64 v[19:20], v[19:20], s[2:3]
	v_add_co_u32 v0, s0, v0, s6
	s_delay_alu instid0(VALU_DEP_1)
	v_add_co_ci_u32_e64 v1, s0, s7, v1, s0
	v_cvt_f64_f32_e32 v[11:12], v27
	v_cvt_f32_f64_e32 v7, v[7:8]
	v_mul_f64 v[25:26], v[25:26], s[2:3]
	v_cvt_f32_f64_e32 v13, v[13:14]
	v_cvt_f32_f64_e32 v14, v[17:18]
	v_cvt_f64_f32_e32 v[17:18], v24
	v_cvt_f64_f32_e32 v[23:24], v28
	v_cvt_f64_f32_e32 v[27:28], v32
	v_cvt_f32_f64_e32 v8, v[19:20]
	v_cvt_f64_f32_e32 v[19:20], v33
	v_mul_f64 v[11:12], v[11:12], s[2:3]
	v_cvt_f64_f32_e32 v[31:32], v40
	global_store_b64 v[0:1], v[13:14], off
	v_mul_f64 v[17:18], v[17:18], s[2:3]
	v_cvt_f64_f32_e32 v[13:14], v29
	v_mul_f64 v[23:24], v[23:24], s[2:3]
	v_mul_f64 v[27:28], v[27:28], s[2:3]
	;; [unrolled: 1-line block ×3, first 2 shown]
	v_add_co_u32 v0, s0, v0, s6
	s_delay_alu instid0(VALU_DEP_1)
	v_add_co_ci_u32_e64 v1, s0, s7, v1, s0
	v_mul_f64 v[31:32], v[31:32], s[2:3]
	v_cvt_f32_f64_e32 v10, v[17:18]
	v_cvt_f64_f32_e32 v[17:18], v30
	v_cvt_f64_f32_e32 v[29:30], v34
	v_mul_f64 v[13:14], v[13:14], s[2:3]
	v_cvt_f64_f32_e32 v[33:34], v41
	v_cvt_f32_f64_e32 v19, v[19:20]
	global_store_b64 v[0:1], v[9:10], off
	v_mul_f64 v[17:18], v[17:18], s[2:3]
	v_mul_f64 v[29:30], v[29:30], s[2:3]
	v_add_co_u32 v0, s0, v0, s6
	s_delay_alu instid0(VALU_DEP_1)
	v_add_co_ci_u32_e64 v1, s0, s7, v1, s0
	v_cvt_f32_f64_e32 v9, v[11:12]
	v_cvt_f32_f64_e32 v10, v[23:24]
	v_cvt_f64_f32_e32 v[11:12], v35
	global_store_b64 v[0:1], v[7:8], off
	v_cvt_f64_f32_e32 v[23:24], v37
	v_cvt_f32_f64_e32 v7, v[13:14]
	v_cvt_f32_f64_e32 v13, v[25:26]
	v_cvt_f64_f32_e32 v[25:26], v38
	v_cvt_f32_f64_e32 v14, v[27:28]
	v_cvt_f64_f32_e32 v[27:28], v39
	v_cvt_f64_f32_e32 v[37:38], v43
	;; [unrolled: 1-line block ×3, first 2 shown]
	v_mul_f64 v[33:34], v[33:34], s[2:3]
	v_add_co_u32 v0, s0, v0, s6
	s_delay_alu instid0(VALU_DEP_1)
	v_add_co_ci_u32_e64 v1, s0, s7, v1, s0
	v_cvt_f32_f64_e32 v8, v[17:18]
	v_cvt_f64_f32_e32 v[17:18], v36
	v_cvt_f64_f32_e32 v[35:36], v42
	v_cvt_f32_f64_e32 v20, v[29:30]
	v_cvt_f64_f32_e32 v[29:30], v45
	v_cvt_f64_f32_e32 v[41:42], v46
	global_store_b64 v[0:1], v[9:10], off
	v_mul_f64 v[11:12], v[11:12], s[2:3]
	v_mul_f64 v[23:24], v[23:24], s[2:3]
	;; [unrolled: 1-line block ×10, first 2 shown]
	v_cvt_f32_f64_e32 v11, v[11:12]
	v_cvt_f32_f64_e32 v12, v[17:18]
	;; [unrolled: 1-line block ×4, first 2 shown]
	v_add_co_u32 v31, s0, v0, s6
	s_delay_alu instid0(VALU_DEP_1) | instskip(SKIP_2) | instid1(VALU_DEP_4)
	v_add_co_ci_u32_e64 v32, s0, s7, v1, s0
	v_cvt_f32_f64_e32 v18, v[25:26]
	v_cvt_f32_f64_e32 v25, v[33:34]
	v_add_co_u32 v33, s0, v31, s6
	s_delay_alu instid0(VALU_DEP_1) | instskip(SKIP_1) | instid1(VALU_DEP_3)
	v_add_co_ci_u32_e64 v34, s0, s7, v32, s0
	v_cvt_f32_f64_e32 v23, v[27:28]
	v_add_co_u32 v0, s0, v33, s6
	v_cvt_f32_f64_e32 v26, v[35:36]
	v_cvt_f32_f64_e32 v27, v[37:38]
	;; [unrolled: 1-line block ×3, first 2 shown]
	v_add_co_ci_u32_e64 v1, s0, s7, v34, s0
	v_cvt_f32_f64_e32 v29, v[29:30]
	v_cvt_f32_f64_e32 v30, v[41:42]
	v_add_co_u32 v9, s0, v0, s6
	s_delay_alu instid0(VALU_DEP_1) | instskip(SKIP_2) | instid1(VALU_DEP_1)
	v_add_co_ci_u32_e64 v10, s0, s7, v1, s0
	global_store_b64 v[31:32], v[7:8], off
	v_add_co_u32 v7, s0, v9, s6
	v_add_co_ci_u32_e64 v8, s0, s7, v10, s0
	global_store_b64 v[33:34], v[13:14], off
	v_add_co_u32 v31, s0, v7, s6
	s_delay_alu instid0(VALU_DEP_1) | instskip(SKIP_2) | instid1(VALU_DEP_1)
	v_add_co_ci_u32_e64 v32, s0, s7, v8, s0
	global_store_b64 v[0:1], v[19:20], off
	v_add_co_u32 v13, s0, v31, s6
	v_add_co_ci_u32_e64 v14, s0, s7, v32, s0
	global_store_b64 v[9:10], v[11:12], off
	v_add_co_u32 v19, s0, v13, s6
	s_delay_alu instid0(VALU_DEP_1) | instskip(NEXT) | instid1(VALU_DEP_2)
	v_add_co_ci_u32_e64 v20, s0, s7, v14, s0
	v_add_co_u32 v0, s0, v19, s6
	s_delay_alu instid0(VALU_DEP_1)
	v_add_co_ci_u32_e64 v1, s0, s7, v20, s0
	global_store_b64 v[7:8], v[17:18], off
	global_store_b64 v[31:32], v[23:24], off
	;; [unrolled: 1-line block ×5, first 2 shown]
	s_and_b32 exec_lo, exec_lo, vcc_lo
	s_cbranch_execz .LBB0_15
; %bb.14:
	global_load_b64 v[11:12], v[240:241], off offset:408
	ds_load_2addr_b64 v[7:10], v244 offset0:51 offset1:150
	s_mul_i32 s0, s5, 0xffffd018
	s_delay_alu instid0(SALU_CYCLE_1) | instskip(SKIP_3) | instid1(VALU_DEP_2)
	s_sub_i32 s0, s0, s4
	s_waitcnt vmcnt(0) lgkmcnt(0)
	v_mul_f32_e32 v13, v8, v12
	v_mul_f32_e32 v12, v7, v12
	v_fmac_f32_e32 v13, v7, v11
	s_delay_alu instid0(VALU_DEP_2) | instskip(NEXT) | instid1(VALU_DEP_2)
	v_fma_f32 v11, v11, v8, -v12
	v_cvt_f64_f32_e32 v[7:8], v13
	s_delay_alu instid0(VALU_DEP_2) | instskip(NEXT) | instid1(VALU_DEP_2)
	v_cvt_f64_f32_e32 v[11:12], v11
	v_mul_f64 v[7:8], v[7:8], s[2:3]
	s_delay_alu instid0(VALU_DEP_2) | instskip(NEXT) | instid1(VALU_DEP_2)
	v_mul_f64 v[11:12], v[11:12], s[2:3]
	v_cvt_f32_f64_e32 v7, v[7:8]
	s_delay_alu instid0(VALU_DEP_2) | instskip(SKIP_1) | instid1(VALU_DEP_1)
	v_cvt_f32_f64_e32 v8, v[11:12]
	v_mad_u64_u32 v[11:12], null, 0xffffd018, s4, v[0:1]
	v_add_nc_u32_e32 v12, s0, v12
	global_store_b64 v[11:12], v[7:8], off
	global_load_b64 v[0:1], v[240:241], off offset:1200
	v_add_co_u32 v11, vcc_lo, v11, s6
	v_add_co_ci_u32_e32 v12, vcc_lo, s7, v12, vcc_lo
	s_waitcnt vmcnt(0)
	v_mul_f32_e32 v7, v10, v1
	v_mul_f32_e32 v1, v9, v1
	s_delay_alu instid0(VALU_DEP_2) | instskip(NEXT) | instid1(VALU_DEP_2)
	v_fmac_f32_e32 v7, v9, v0
	v_fma_f32 v8, v0, v10, -v1
	s_delay_alu instid0(VALU_DEP_2) | instskip(NEXT) | instid1(VALU_DEP_2)
	v_cvt_f64_f32_e32 v[0:1], v7
	v_cvt_f64_f32_e32 v[7:8], v8
	s_delay_alu instid0(VALU_DEP_2) | instskip(NEXT) | instid1(VALU_DEP_2)
	v_mul_f64 v[0:1], v[0:1], s[2:3]
	v_mul_f64 v[7:8], v[7:8], s[2:3]
	s_delay_alu instid0(VALU_DEP_2) | instskip(NEXT) | instid1(VALU_DEP_2)
	v_cvt_f32_f64_e32 v0, v[0:1]
	v_cvt_f32_f64_e32 v1, v[7:8]
	ds_load_2addr_b64 v[7:10], v2 offset0:121 offset1:220
	global_store_b64 v[11:12], v[0:1], off
	global_load_b64 v[0:1], v[240:241], off offset:1992
	s_waitcnt vmcnt(0) lgkmcnt(0)
	v_mul_f32_e32 v2, v8, v1
	v_mul_f32_e32 v1, v7, v1
	s_delay_alu instid0(VALU_DEP_2) | instskip(NEXT) | instid1(VALU_DEP_2)
	v_fmac_f32_e32 v2, v7, v0
	v_fma_f32 v7, v0, v8, -v1
	s_delay_alu instid0(VALU_DEP_2) | instskip(NEXT) | instid1(VALU_DEP_2)
	v_cvt_f64_f32_e32 v[0:1], v2
	v_cvt_f64_f32_e32 v[7:8], v7
	s_delay_alu instid0(VALU_DEP_2) | instskip(NEXT) | instid1(VALU_DEP_2)
	v_mul_f64 v[0:1], v[0:1], s[2:3]
	v_mul_f64 v[7:8], v[7:8], s[2:3]
	s_delay_alu instid0(VALU_DEP_2) | instskip(NEXT) | instid1(VALU_DEP_2)
	v_cvt_f32_f64_e32 v0, v[0:1]
	v_cvt_f32_f64_e32 v1, v[7:8]
	v_add_co_u32 v7, vcc_lo, v11, s6
	v_add_co_ci_u32_e32 v8, vcc_lo, s7, v12, vcc_lo
	global_store_b64 v[7:8], v[0:1], off
	global_load_b64 v[0:1], v[240:241], off offset:2784
	s_waitcnt vmcnt(0)
	v_mul_f32_e32 v2, v10, v1
	v_mul_f32_e32 v1, v9, v1
	s_delay_alu instid0(VALU_DEP_2) | instskip(NEXT) | instid1(VALU_DEP_2)
	v_fmac_f32_e32 v2, v9, v0
	v_fma_f32 v9, v0, v10, -v1
	s_delay_alu instid0(VALU_DEP_2) | instskip(NEXT) | instid1(VALU_DEP_2)
	v_cvt_f64_f32_e32 v[0:1], v2
	v_cvt_f64_f32_e32 v[9:10], v9
	s_delay_alu instid0(VALU_DEP_2) | instskip(NEXT) | instid1(VALU_DEP_2)
	v_mul_f64 v[0:1], v[0:1], s[2:3]
	v_mul_f64 v[9:10], v[9:10], s[2:3]
	s_delay_alu instid0(VALU_DEP_2) | instskip(NEXT) | instid1(VALU_DEP_2)
	v_cvt_f32_f64_e32 v0, v[0:1]
	v_cvt_f32_f64_e32 v1, v[9:10]
	v_add_co_u32 v10, vcc_lo, v7, s6
	v_add_co_ci_u32_e32 v11, vcc_lo, s7, v8, vcc_lo
	ds_load_2addr_b64 v[6:9], v6 offset0:63 offset1:162
	global_store_b64 v[10:11], v[0:1], off
	global_load_b64 v[0:1], v[240:241], off offset:3576
	s_waitcnt vmcnt(0) lgkmcnt(0)
	v_mul_f32_e32 v2, v7, v1
	v_mul_f32_e32 v1, v6, v1
	s_delay_alu instid0(VALU_DEP_2) | instskip(NEXT) | instid1(VALU_DEP_2)
	v_fmac_f32_e32 v2, v6, v0
	v_fma_f32 v6, v0, v7, -v1
	s_delay_alu instid0(VALU_DEP_2) | instskip(NEXT) | instid1(VALU_DEP_2)
	v_cvt_f64_f32_e32 v[0:1], v2
	v_cvt_f64_f32_e32 v[6:7], v6
	s_delay_alu instid0(VALU_DEP_2) | instskip(NEXT) | instid1(VALU_DEP_2)
	v_mul_f64 v[0:1], v[0:1], s[2:3]
	v_mul_f64 v[6:7], v[6:7], s[2:3]
	s_delay_alu instid0(VALU_DEP_2) | instskip(NEXT) | instid1(VALU_DEP_2)
	v_cvt_f32_f64_e32 v0, v[0:1]
	v_cvt_f32_f64_e32 v1, v[6:7]
	v_add_co_u32 v6, vcc_lo, v10, s6
	v_add_co_ci_u32_e32 v7, vcc_lo, s7, v11, vcc_lo
	s_delay_alu instid0(VALU_DEP_2) | instskip(NEXT) | instid1(VALU_DEP_2)
	v_add_co_u32 v10, vcc_lo, v6, s6
	v_add_co_ci_u32_e32 v11, vcc_lo, s7, v7, vcc_lo
	global_store_b64 v[6:7], v[0:1], off
	global_load_b64 v[0:1], v[205:206], off offset:272
	s_waitcnt vmcnt(0)
	v_mul_f32_e32 v2, v9, v1
	v_mul_f32_e32 v1, v8, v1
	s_delay_alu instid0(VALU_DEP_2) | instskip(NEXT) | instid1(VALU_DEP_2)
	v_fmac_f32_e32 v2, v8, v0
	v_fma_f32 v8, v0, v9, -v1
	s_delay_alu instid0(VALU_DEP_2) | instskip(NEXT) | instid1(VALU_DEP_2)
	v_cvt_f64_f32_e32 v[0:1], v2
	v_cvt_f64_f32_e32 v[8:9], v8
	s_delay_alu instid0(VALU_DEP_2) | instskip(NEXT) | instid1(VALU_DEP_2)
	v_mul_f64 v[0:1], v[0:1], s[2:3]
	v_mul_f64 v[8:9], v[8:9], s[2:3]
	s_delay_alu instid0(VALU_DEP_2) | instskip(NEXT) | instid1(VALU_DEP_2)
	v_cvt_f32_f64_e32 v0, v[0:1]
	v_cvt_f32_f64_e32 v1, v[8:9]
	ds_load_2addr_b64 v[6:9], v22 offset0:133 offset1:232
	global_store_b64 v[10:11], v[0:1], off
	global_load_b64 v[0:1], v[205:206], off offset:1064
	s_waitcnt vmcnt(0) lgkmcnt(0)
	v_mul_f32_e32 v2, v7, v1
	v_mul_f32_e32 v1, v6, v1
	s_delay_alu instid0(VALU_DEP_2) | instskip(NEXT) | instid1(VALU_DEP_2)
	v_fmac_f32_e32 v2, v6, v0
	v_fma_f32 v6, v0, v7, -v1
	s_delay_alu instid0(VALU_DEP_2) | instskip(NEXT) | instid1(VALU_DEP_2)
	v_cvt_f64_f32_e32 v[0:1], v2
	v_cvt_f64_f32_e32 v[6:7], v6
	s_delay_alu instid0(VALU_DEP_2) | instskip(NEXT) | instid1(VALU_DEP_2)
	v_mul_f64 v[0:1], v[0:1], s[2:3]
	v_mul_f64 v[6:7], v[6:7], s[2:3]
	s_delay_alu instid0(VALU_DEP_2) | instskip(NEXT) | instid1(VALU_DEP_2)
	v_cvt_f32_f64_e32 v0, v[0:1]
	v_cvt_f32_f64_e32 v1, v[6:7]
	v_add_co_u32 v6, vcc_lo, v10, s6
	v_add_co_ci_u32_e32 v7, vcc_lo, s7, v11, vcc_lo
	s_delay_alu instid0(VALU_DEP_2) | instskip(NEXT) | instid1(VALU_DEP_2)
	v_add_co_u32 v10, vcc_lo, v6, s6
	v_add_co_ci_u32_e32 v11, vcc_lo, s7, v7, vcc_lo
	global_store_b64 v[6:7], v[0:1], off
	global_load_b64 v[0:1], v[205:206], off offset:1856
	s_waitcnt vmcnt(0)
	v_mul_f32_e32 v2, v9, v1
	v_mul_f32_e32 v1, v8, v1
	s_delay_alu instid0(VALU_DEP_2) | instskip(NEXT) | instid1(VALU_DEP_2)
	v_fmac_f32_e32 v2, v8, v0
	v_fma_f32 v8, v0, v9, -v1
	s_delay_alu instid0(VALU_DEP_2) | instskip(NEXT) | instid1(VALU_DEP_2)
	v_cvt_f64_f32_e32 v[0:1], v2
	v_cvt_f64_f32_e32 v[8:9], v8
	s_delay_alu instid0(VALU_DEP_2) | instskip(NEXT) | instid1(VALU_DEP_2)
	v_mul_f64 v[0:1], v[0:1], s[2:3]
	v_mul_f64 v[8:9], v[8:9], s[2:3]
	s_delay_alu instid0(VALU_DEP_2) | instskip(NEXT) | instid1(VALU_DEP_2)
	v_cvt_f32_f64_e32 v0, v[0:1]
	v_cvt_f32_f64_e32 v1, v[8:9]
	;; [unrolled: 40-line block ×3, first 2 shown]
	ds_load_2addr_b64 v[6:9], v16 offset0:17 offset1:116
	global_store_b64 v[10:11], v[0:1], off
	global_load_b64 v[0:1], v[199:200], off offset:136
	s_waitcnt vmcnt(0) lgkmcnt(0)
	v_mul_f32_e32 v2, v7, v1
	v_mul_f32_e32 v1, v6, v1
	s_delay_alu instid0(VALU_DEP_2) | instskip(NEXT) | instid1(VALU_DEP_2)
	v_fmac_f32_e32 v2, v6, v0
	v_fma_f32 v6, v0, v7, -v1
	s_delay_alu instid0(VALU_DEP_2) | instskip(NEXT) | instid1(VALU_DEP_2)
	v_cvt_f64_f32_e32 v[0:1], v2
	v_cvt_f64_f32_e32 v[6:7], v6
	s_delay_alu instid0(VALU_DEP_2) | instskip(NEXT) | instid1(VALU_DEP_2)
	v_mul_f64 v[0:1], v[0:1], s[2:3]
	v_mul_f64 v[6:7], v[6:7], s[2:3]
	s_delay_alu instid0(VALU_DEP_2) | instskip(NEXT) | instid1(VALU_DEP_2)
	v_cvt_f32_f64_e32 v0, v[0:1]
	v_cvt_f32_f64_e32 v1, v[6:7]
	v_add_co_u32 v6, vcc_lo, v10, s6
	v_add_co_ci_u32_e32 v7, vcc_lo, s7, v11, vcc_lo
	global_store_b64 v[6:7], v[0:1], off
	global_load_b64 v[0:1], v[199:200], off offset:928
	v_add_co_u32 v6, vcc_lo, v6, s6
	v_add_co_ci_u32_e32 v7, vcc_lo, s7, v7, vcc_lo
	s_waitcnt vmcnt(0)
	v_mul_f32_e32 v2, v9, v1
	v_mul_f32_e32 v1, v8, v1
	s_delay_alu instid0(VALU_DEP_2) | instskip(NEXT) | instid1(VALU_DEP_2)
	v_fmac_f32_e32 v2, v8, v0
	v_fma_f32 v8, v0, v9, -v1
	s_delay_alu instid0(VALU_DEP_2) | instskip(NEXT) | instid1(VALU_DEP_2)
	v_cvt_f64_f32_e32 v[0:1], v2
	v_cvt_f64_f32_e32 v[8:9], v8
	s_delay_alu instid0(VALU_DEP_2) | instskip(NEXT) | instid1(VALU_DEP_2)
	v_mul_f64 v[0:1], v[0:1], s[2:3]
	v_mul_f64 v[8:9], v[8:9], s[2:3]
	s_delay_alu instid0(VALU_DEP_2) | instskip(NEXT) | instid1(VALU_DEP_2)
	v_cvt_f32_f64_e32 v0, v[0:1]
	v_cvt_f32_f64_e32 v1, v[8:9]
	global_store_b64 v[6:7], v[0:1], off
	global_load_b64 v[8:9], v[199:200], off offset:1720
	ds_load_2addr_b64 v[0:3], v3 offset0:87 offset1:186
	v_add_co_u32 v6, vcc_lo, v6, s6
	v_add_co_ci_u32_e32 v7, vcc_lo, s7, v7, vcc_lo
	s_waitcnt vmcnt(0) lgkmcnt(0)
	v_mul_f32_e32 v10, v1, v9
	v_mul_f32_e32 v9, v0, v9
	s_delay_alu instid0(VALU_DEP_2) | instskip(NEXT) | instid1(VALU_DEP_2)
	v_fmac_f32_e32 v10, v0, v8
	v_fma_f32 v8, v8, v1, -v9
	s_delay_alu instid0(VALU_DEP_2) | instskip(NEXT) | instid1(VALU_DEP_2)
	v_cvt_f64_f32_e32 v[0:1], v10
	v_cvt_f64_f32_e32 v[8:9], v8
	s_delay_alu instid0(VALU_DEP_2) | instskip(NEXT) | instid1(VALU_DEP_2)
	v_mul_f64 v[0:1], v[0:1], s[2:3]
	v_mul_f64 v[8:9], v[8:9], s[2:3]
	s_delay_alu instid0(VALU_DEP_2) | instskip(NEXT) | instid1(VALU_DEP_2)
	v_cvt_f32_f64_e32 v0, v[0:1]
	v_cvt_f32_f64_e32 v1, v[8:9]
	global_store_b64 v[6:7], v[0:1], off
	global_load_b64 v[0:1], v[199:200], off offset:2512
	v_add_co_u32 v6, vcc_lo, v6, s6
	v_add_co_ci_u32_e32 v7, vcc_lo, s7, v7, vcc_lo
	s_waitcnt vmcnt(0)
	v_mul_f32_e32 v8, v3, v1
	v_mul_f32_e32 v1, v2, v1
	s_delay_alu instid0(VALU_DEP_2) | instskip(NEXT) | instid1(VALU_DEP_2)
	v_fmac_f32_e32 v8, v2, v0
	v_fma_f32 v2, v0, v3, -v1
	s_delay_alu instid0(VALU_DEP_2) | instskip(NEXT) | instid1(VALU_DEP_2)
	v_cvt_f64_f32_e32 v[0:1], v8
	v_cvt_f64_f32_e32 v[2:3], v2
	s_delay_alu instid0(VALU_DEP_2) | instskip(NEXT) | instid1(VALU_DEP_2)
	v_mul_f64 v[0:1], v[0:1], s[2:3]
	v_mul_f64 v[2:3], v[2:3], s[2:3]
	s_delay_alu instid0(VALU_DEP_2) | instskip(NEXT) | instid1(VALU_DEP_2)
	v_cvt_f32_f64_e32 v0, v[0:1]
	v_cvt_f32_f64_e32 v1, v[2:3]
	global_store_b64 v[6:7], v[0:1], off
	global_load_b64 v[8:9], v[199:200], off offset:3304
	ds_load_2addr_b64 v[0:3], v68 offset0:29 offset1:128
	v_add_co_u32 v6, vcc_lo, v6, s6
	v_add_co_ci_u32_e32 v7, vcc_lo, s7, v7, vcc_lo
	s_waitcnt vmcnt(0) lgkmcnt(0)
	v_mul_f32_e32 v10, v1, v9
	v_mul_f32_e32 v9, v0, v9
	s_delay_alu instid0(VALU_DEP_2) | instskip(NEXT) | instid1(VALU_DEP_2)
	v_fmac_f32_e32 v10, v0, v8
	v_fma_f32 v8, v8, v1, -v9
	s_delay_alu instid0(VALU_DEP_2) | instskip(NEXT) | instid1(VALU_DEP_2)
	v_cvt_f64_f32_e32 v[0:1], v10
	v_cvt_f64_f32_e32 v[8:9], v8
	s_delay_alu instid0(VALU_DEP_2) | instskip(NEXT) | instid1(VALU_DEP_2)
	v_mul_f64 v[0:1], v[0:1], s[2:3]
	v_mul_f64 v[8:9], v[8:9], s[2:3]
	s_delay_alu instid0(VALU_DEP_2) | instskip(NEXT) | instid1(VALU_DEP_2)
	v_cvt_f32_f64_e32 v0, v[0:1]
	v_cvt_f32_f64_e32 v1, v[8:9]
	v_lshlrev_b32_e32 v8, 3, v246
	global_store_b64 v[6:7], v[0:1], off
	global_load_b64 v[0:1], v8, s[12:13]
	s_waitcnt vmcnt(0)
	v_mul_f32_e32 v8, v3, v1
	v_mul_f32_e32 v1, v2, v1
	s_delay_alu instid0(VALU_DEP_2) | instskip(NEXT) | instid1(VALU_DEP_2)
	v_fmac_f32_e32 v8, v2, v0
	v_fma_f32 v2, v0, v3, -v1
	s_delay_alu instid0(VALU_DEP_2) | instskip(NEXT) | instid1(VALU_DEP_2)
	v_cvt_f64_f32_e32 v[0:1], v8
	v_cvt_f64_f32_e32 v[2:3], v2
	v_mad_u64_u32 v[8:9], null, s4, v246, 0
	s_delay_alu instid0(VALU_DEP_3) | instskip(NEXT) | instid1(VALU_DEP_3)
	v_mul_f64 v[0:1], v[0:1], s[2:3]
	v_mul_f64 v[2:3], v[2:3], s[2:3]
	s_delay_alu instid0(VALU_DEP_2) | instskip(NEXT) | instid1(VALU_DEP_2)
	v_cvt_f32_f64_e32 v0, v[0:1]
	v_cvt_f32_f64_e32 v1, v[2:3]
	v_mov_b32_e32 v2, v9
	s_delay_alu instid0(VALU_DEP_1) | instskip(NEXT) | instid1(VALU_DEP_1)
	v_mad_u64_u32 v[9:10], null, s5, v246, v[2:3]
	v_lshlrev_b64 v[2:3], 3, v[8:9]
	s_delay_alu instid0(VALU_DEP_1) | instskip(NEXT) | instid1(VALU_DEP_2)
	v_add_co_u32 v2, vcc_lo, v4, v2
	v_add_co_ci_u32_e32 v3, vcc_lo, v5, v3, vcc_lo
	global_store_b64 v[2:3], v[0:1], off
	global_load_b64 v[0:1], v[203:204], off offset:792
	ds_load_b64 v[2:3], v244 offset:13080
	s_waitcnt vmcnt(0) lgkmcnt(0)
	v_mul_f32_e32 v4, v3, v1
	v_mul_f32_e32 v1, v2, v1
	s_delay_alu instid0(VALU_DEP_2) | instskip(NEXT) | instid1(VALU_DEP_2)
	v_fmac_f32_e32 v4, v2, v0
	v_fma_f32 v2, v0, v3, -v1
	s_delay_alu instid0(VALU_DEP_2) | instskip(NEXT) | instid1(VALU_DEP_2)
	v_cvt_f64_f32_e32 v[0:1], v4
	v_cvt_f64_f32_e32 v[2:3], v2
	s_delay_alu instid0(VALU_DEP_2) | instskip(NEXT) | instid1(VALU_DEP_2)
	v_mul_f64 v[0:1], v[0:1], s[2:3]
	v_mul_f64 v[2:3], v[2:3], s[2:3]
	s_delay_alu instid0(VALU_DEP_2) | instskip(NEXT) | instid1(VALU_DEP_2)
	v_cvt_f32_f64_e32 v0, v[0:1]
	v_cvt_f32_f64_e32 v1, v[2:3]
	v_mad_u64_u32 v[2:3], null, 0x630, s4, v[6:7]
	s_delay_alu instid0(VALU_DEP_1) | instskip(NEXT) | instid1(VALU_DEP_1)
	v_mad_u64_u32 v[4:5], null, 0x630, s5, v[3:4]
	v_mov_b32_e32 v3, v4
	global_store_b64 v[2:3], v[0:1], off
.LBB0_15:
	s_nop 0
	s_sendmsg sendmsg(MSG_DEALLOC_VGPRS)
	s_endpgm
	.section	.rodata,"a",@progbits
	.p2align	6, 0x0
	.amdhsa_kernel bluestein_single_back_len1683_dim1_sp_op_CI_CI
		.amdhsa_group_segment_fixed_size 13464
		.amdhsa_private_segment_fixed_size 308
		.amdhsa_kernarg_size 104
		.amdhsa_user_sgpr_count 15
		.amdhsa_user_sgpr_dispatch_ptr 0
		.amdhsa_user_sgpr_queue_ptr 0
		.amdhsa_user_sgpr_kernarg_segment_ptr 1
		.amdhsa_user_sgpr_dispatch_id 0
		.amdhsa_user_sgpr_private_segment_size 0
		.amdhsa_wavefront_size32 1
		.amdhsa_uses_dynamic_stack 0
		.amdhsa_enable_private_segment 1
		.amdhsa_system_sgpr_workgroup_id_x 1
		.amdhsa_system_sgpr_workgroup_id_y 0
		.amdhsa_system_sgpr_workgroup_id_z 0
		.amdhsa_system_sgpr_workgroup_info 0
		.amdhsa_system_vgpr_workitem_id 0
		.amdhsa_next_free_vgpr 256
		.amdhsa_next_free_sgpr 20
		.amdhsa_reserve_vcc 1
		.amdhsa_float_round_mode_32 0
		.amdhsa_float_round_mode_16_64 0
		.amdhsa_float_denorm_mode_32 3
		.amdhsa_float_denorm_mode_16_64 3
		.amdhsa_dx10_clamp 1
		.amdhsa_ieee_mode 1
		.amdhsa_fp16_overflow 0
		.amdhsa_workgroup_processor_mode 1
		.amdhsa_memory_ordered 1
		.amdhsa_forward_progress 0
		.amdhsa_shared_vgpr_count 0
		.amdhsa_exception_fp_ieee_invalid_op 0
		.amdhsa_exception_fp_denorm_src 0
		.amdhsa_exception_fp_ieee_div_zero 0
		.amdhsa_exception_fp_ieee_overflow 0
		.amdhsa_exception_fp_ieee_underflow 0
		.amdhsa_exception_fp_ieee_inexact 0
		.amdhsa_exception_int_div_zero 0
	.end_amdhsa_kernel
	.text
.Lfunc_end0:
	.size	bluestein_single_back_len1683_dim1_sp_op_CI_CI, .Lfunc_end0-bluestein_single_back_len1683_dim1_sp_op_CI_CI
                                        ; -- End function
	.section	.AMDGPU.csdata,"",@progbits
; Kernel info:
; codeLenInByte = 55684
; NumSgprs: 22
; NumVgprs: 256
; ScratchSize: 308
; MemoryBound: 0
; FloatMode: 240
; IeeeMode: 1
; LDSByteSize: 13464 bytes/workgroup (compile time only)
; SGPRBlocks: 2
; VGPRBlocks: 31
; NumSGPRsForWavesPerEU: 22
; NumVGPRsForWavesPerEU: 256
; Occupancy: 5
; WaveLimiterHint : 1
; COMPUTE_PGM_RSRC2:SCRATCH_EN: 1
; COMPUTE_PGM_RSRC2:USER_SGPR: 15
; COMPUTE_PGM_RSRC2:TRAP_HANDLER: 0
; COMPUTE_PGM_RSRC2:TGID_X_EN: 1
; COMPUTE_PGM_RSRC2:TGID_Y_EN: 0
; COMPUTE_PGM_RSRC2:TGID_Z_EN: 0
; COMPUTE_PGM_RSRC2:TIDIG_COMP_CNT: 0
	.text
	.p2alignl 7, 3214868480
	.fill 96, 4, 3214868480
	.type	__hip_cuid_3b57f52cdcb92fee,@object ; @__hip_cuid_3b57f52cdcb92fee
	.section	.bss,"aw",@nobits
	.globl	__hip_cuid_3b57f52cdcb92fee
__hip_cuid_3b57f52cdcb92fee:
	.byte	0                               ; 0x0
	.size	__hip_cuid_3b57f52cdcb92fee, 1

	.ident	"AMD clang version 19.0.0git (https://github.com/RadeonOpenCompute/llvm-project roc-6.4.0 25133 c7fe45cf4b819c5991fe208aaa96edf142730f1d)"
	.section	".note.GNU-stack","",@progbits
	.addrsig
	.addrsig_sym __hip_cuid_3b57f52cdcb92fee
	.amdgpu_metadata
---
amdhsa.kernels:
  - .args:
      - .actual_access:  read_only
        .address_space:  global
        .offset:         0
        .size:           8
        .value_kind:     global_buffer
      - .actual_access:  read_only
        .address_space:  global
        .offset:         8
        .size:           8
        .value_kind:     global_buffer
      - .actual_access:  read_only
        .address_space:  global
        .offset:         16
        .size:           8
        .value_kind:     global_buffer
      - .actual_access:  read_only
        .address_space:  global
        .offset:         24
        .size:           8
        .value_kind:     global_buffer
      - .actual_access:  read_only
        .address_space:  global
        .offset:         32
        .size:           8
        .value_kind:     global_buffer
      - .offset:         40
        .size:           8
        .value_kind:     by_value
      - .address_space:  global
        .offset:         48
        .size:           8
        .value_kind:     global_buffer
      - .address_space:  global
        .offset:         56
        .size:           8
        .value_kind:     global_buffer
      - .address_space:  global
        .offset:         64
        .size:           8
        .value_kind:     global_buffer
      - .address_space:  global
        .offset:         72
        .size:           8
        .value_kind:     global_buffer
      - .offset:         80
        .size:           4
        .value_kind:     by_value
      - .address_space:  global
        .offset:         88
        .size:           8
        .value_kind:     global_buffer
      - .address_space:  global
        .offset:         96
        .size:           8
        .value_kind:     global_buffer
    .group_segment_fixed_size: 13464
    .kernarg_segment_align: 8
    .kernarg_segment_size: 104
    .language:       OpenCL C
    .language_version:
      - 2
      - 0
    .max_flat_workgroup_size: 51
    .name:           bluestein_single_back_len1683_dim1_sp_op_CI_CI
    .private_segment_fixed_size: 308
    .sgpr_count:     22
    .sgpr_spill_count: 0
    .symbol:         bluestein_single_back_len1683_dim1_sp_op_CI_CI.kd
    .uniform_work_group_size: 1
    .uses_dynamic_stack: false
    .vgpr_count:     256
    .vgpr_spill_count: 76
    .wavefront_size: 32
    .workgroup_processor_mode: 1
amdhsa.target:   amdgcn-amd-amdhsa--gfx1100
amdhsa.version:
  - 1
  - 2
...

	.end_amdgpu_metadata
